;; amdgpu-corpus repo=ggml-org/llama.cpp kind=compiled arch=gfx950 opt=O3
	.amdgcn_target "amdgcn-amd-amdhsa--gfx950"
	.amdhsa_code_object_version 6
	.section	.text._ZL8norm_f32ILi32EEvPKfPfilllf,"axG",@progbits,_ZL8norm_f32ILi32EEvPKfPfilllf,comdat
	.globl	_ZL8norm_f32ILi32EEvPKfPfilllf  ; -- Begin function _ZL8norm_f32ILi32EEvPKfPfilllf
	.p2align	8
	.type	_ZL8norm_f32ILi32EEvPKfPfilllf,@function
_ZL8norm_f32ILi32EEvPKfPfilllf:         ; @_ZL8norm_f32ILi32EEvPKfPfilllf
; %bb.0:
	s_load_dwordx4 s[8:11], s[0:1], 0x0
	s_load_dword s5, s[0:1], 0x10
	s_load_dwordx4 s[20:23], s[0:1], 0x18
	s_load_dwordx2 s[6:7], s[0:1], 0x28
	s_load_dwordx2 s[12:13], s[0:1], 0x38
	s_ashr_i32 s14, s4, 31
	s_ashr_i32 s15, s3, 31
	;; [unrolled: 1-line block ×3, first 2 shown]
	v_mov_b32_e32 v5, 0
	s_waitcnt lgkmcnt(0)
	v_cmp_gt_i32_e32 vcc, s5, v0
	s_mul_i32 s30, s6, s14
	s_mul_hi_u32 s34, s6, s4
	s_mul_i32 s35, s7, s4
	s_mul_i32 s18, s6, s4
	s_mul_i32 s29, s22, s15
	s_mul_hi_u32 s31, s22, s3
	s_mul_i32 s33, s23, s3
	s_mul_i32 s16, s22, s3
	;; [unrolled: 4-line block ×3, first 2 shown]
	v_lshlrev_b32_e32 v2, 2, v0
	v_mov_b32_e32 v4, v5
	s_and_saveexec_b64 s[20:21], vcc
	s_cbranch_execz .LBB0_4
; %bb.1:
	s_add_i32 s6, s34, s30
	s_add_i32 s15, s31, s29
	;; [unrolled: 1-line block ×4, first 2 shown]
	s_lshl_b64 s[6:7], s[18:19], 2
	s_lshl_b64 s[22:23], s[16:17], 2
	s_add_u32 s17, s6, s22
	s_addc_u32 s19, s7, s23
	s_add_i32 s6, s27, s26
	s_add_i32 s15, s6, s28
	s_lshl_b64 s[6:7], s[14:15], 2
	s_add_u32 s6, s17, s6
	s_addc_u32 s7, s19, s7
	s_add_u32 s6, s8, s6
	v_mov_b32_e32 v3, 0
	s_addc_u32 s7, s9, s7
	v_lshl_add_u64 v[6:7], s[6:7], 0, v[2:3]
	s_mov_b64 s[22:23], 0
	s_mov_b64 s[24:25], 0x80
	v_mov_b32_e32 v1, v0
	v_mov_b32_e32 v4, v3
	;; [unrolled: 1-line block ×3, first 2 shown]
.LBB0_2:                                ; =>This Inner Loop Header: Depth=1
	global_load_dword v9, v[6:7], off
	v_add_u32_e32 v1, 32, v1
	v_cmp_le_i32_e64 s[6:7], s5, v1
	v_lshl_add_u64 v[6:7], v[6:7], 0, s[24:25]
	s_or_b64 s[22:23], s[6:7], s[22:23]
	s_waitcnt vmcnt(0)
	v_mul_f32_e32 v8, v9, v9
	v_pk_add_f32 v[4:5], v[4:5], v[8:9]
	s_andn2_b64 exec, exec, s[22:23]
	s_cbranch_execnz .LBB0_2
; %bb.3:
	s_or_b64 exec, exec, s[22:23]
.LBB0_4:
	s_or_b64 exec, exec, s[20:21]
	v_mbcnt_lo_u32_b32 v1, -1, 0
	v_mbcnt_hi_u32_b32 v1, -1, v1
	v_and_b32_e32 v3, 0x60, v1
	v_add_u32_e32 v3, 32, v3
	v_xor_b32_e32 v6, 16, v1
	v_cmp_lt_i32_e64 s[6:7], v6, v3
	v_xor_b32_e32 v8, 8, v1
	s_nop 0
	v_cndmask_b32_e64 v6, v1, v6, s[6:7]
	v_lshlrev_b32_e32 v6, 2, v6
	ds_bpermute_b32 v7, v6, v5
	ds_bpermute_b32 v6, v6, v4
	v_cmp_lt_i32_e64 s[6:7], v8, v3
	s_waitcnt lgkmcnt(0)
	v_pk_add_f32 v[4:5], v[4:5], v[6:7]
	v_cndmask_b32_e64 v8, v1, v8, s[6:7]
	v_lshlrev_b32_e32 v8, 2, v8
	ds_bpermute_b32 v7, v8, v5
	ds_bpermute_b32 v6, v8, v4
	v_xor_b32_e32 v8, 4, v1
	v_cmp_lt_i32_e64 s[6:7], v8, v3
	s_waitcnt lgkmcnt(0)
	v_pk_add_f32 v[4:5], v[4:5], v[6:7]
	v_cndmask_b32_e64 v8, v1, v8, s[6:7]
	v_lshlrev_b32_e32 v8, 2, v8
	ds_bpermute_b32 v7, v8, v5
	ds_bpermute_b32 v6, v8, v4
	v_xor_b32_e32 v8, 2, v1
	;; [unrolled: 8-line block ×3, first 2 shown]
	v_cmp_lt_i32_e64 s[6:7], v8, v3
	s_waitcnt lgkmcnt(0)
	v_pk_add_f32 v[4:5], v[4:5], v[6:7]
	v_cndmask_b32_e64 v1, v1, v8, s[6:7]
	v_lshlrev_b32_e32 v1, 2, v1
	ds_bpermute_b32 v7, v1, v5
	ds_bpermute_b32 v6, v1, v4
	s_and_saveexec_b64 s[6:7], vcc
	s_cbranch_execz .LBB0_7
; %bb.5:
	v_cvt_f32_i32_e32 v3, s5
	s_waitcnt lgkmcnt(0)
	v_pk_add_f32 v[4:5], v[4:5], v[6:7]
	s_nop 0
	v_div_scale_f32 v1, s[6:7], v3, v3, v5
	v_rcp_f32_e32 v6, v1
	v_div_scale_f32 v7, vcc, v5, v3, v5
	s_load_dword s6, s[0:1], 0x30
	v_fma_f32 v8, -v1, v6, 1.0
	v_fmac_f32_e32 v6, v8, v6
	v_mul_f32_e32 v8, v7, v6
	v_fma_f32 v9, -v1, v8, v7
	v_fmac_f32_e32 v8, v9, v6
	v_fma_f32 v1, -v1, v8, v7
	v_div_scale_f32 v7, s[0:1], v3, v3, v4
	v_rcp_f32_e32 v9, v7
	v_div_fmas_f32 v1, v1, v6, v8
	v_div_fixup_f32 v1, v1, v3, v5
	s_mov_b32 s0, 0x800000
	v_fma_f32 v5, -v7, v9, 1.0
	v_fmac_f32_e32 v9, v5, v9
	v_div_scale_f32 v5, vcc, v4, v3, v4
	v_mul_f32_e32 v6, v5, v9
	v_fma_f32 v8, -v7, v6, v5
	v_fmac_f32_e32 v6, v8, v9
	v_fma_f32 v5, -v7, v6, v5
	v_div_fmas_f32 v5, v5, v9, v6
	v_div_fixup_f32 v3, v5, v3, v4
	v_fma_f32 v3, -v1, v1, v3
	s_waitcnt lgkmcnt(0)
	v_add_f32_e32 v3, s6, v3
	v_cmp_gt_f32_e32 vcc, s0, v3
	s_mul_i32 s0, s13, s4
	s_add_i32 s0, s0, s3
	s_mul_i32 s0, s0, s12
	s_add_i32 s0, s0, s2
	s_add_i32 s2, s34, s30
	;; [unrolled: 1-line block ×3, first 2 shown]
	s_mul_i32 s0, s0, s5
	s_add_i32 s19, s2, s35
	s_add_i32 s17, s4, s33
	s_ashr_i32 s1, s0, 31
	s_lshl_b64 s[2:3], s[18:19], 2
	s_lshl_b64 s[6:7], s[16:17], 2
	s_add_u32 s4, s2, s6
	s_addc_u32 s6, s3, s7
	s_add_i32 s2, s27, s26
	v_mul_f32_e32 v4, 0x4b800000, v3
	s_add_i32 s15, s2, s28
	v_cndmask_b32_e32 v3, v3, v4, vcc
	s_lshl_b64 s[2:3], s[14:15], 2
	v_rsq_f32_e32 v3, v3
	s_add_u32 s2, s4, s2
	s_addc_u32 s3, s6, s3
	s_add_u32 s2, s8, s2
	s_addc_u32 s3, s9, s3
	s_lshl_b64 s[0:1], s[0:1], 2
	v_mul_f32_e32 v4, 0x45800000, v3
	s_add_u32 s0, s10, s0
	v_cndmask_b32_e32 v6, v3, v4, vcc
	v_mov_b32_e32 v3, 0
	s_addc_u32 s1, s11, s1
	v_lshl_add_u64 v[4:5], s[2:3], 0, v[2:3]
	v_lshl_add_u64 v[2:3], s[0:1], 0, v[2:3]
	s_mov_b64 s[0:1], 0
	s_mov_b64 s[2:3], 0x80
.LBB0_6:                                ; =>This Inner Loop Header: Depth=1
	global_load_dword v7, v[4:5], off
	v_add_u32_e32 v0, 32, v0
	v_cmp_le_i32_e32 vcc, s5, v0
	v_lshl_add_u64 v[4:5], v[4:5], 0, s[2:3]
	s_or_b64 s[0:1], vcc, s[0:1]
	s_waitcnt vmcnt(0)
	v_sub_f32_e32 v7, v7, v1
	v_mul_f32_e32 v7, v6, v7
	global_store_dword v[2:3], v7, off
	v_lshl_add_u64 v[2:3], v[2:3], 0, s[2:3]
	s_andn2_b64 exec, exec, s[0:1]
	s_cbranch_execnz .LBB0_6
.LBB0_7:
	s_endpgm
	.section	.rodata,"a",@progbits
	.p2align	6, 0x0
	.amdhsa_kernel _ZL8norm_f32ILi32EEvPKfPfilllf
		.amdhsa_group_segment_fixed_size 0
		.amdhsa_private_segment_fixed_size 0
		.amdhsa_kernarg_size 312
		.amdhsa_user_sgpr_count 2
		.amdhsa_user_sgpr_dispatch_ptr 0
		.amdhsa_user_sgpr_queue_ptr 0
		.amdhsa_user_sgpr_kernarg_segment_ptr 1
		.amdhsa_user_sgpr_dispatch_id 0
		.amdhsa_user_sgpr_kernarg_preload_length 0
		.amdhsa_user_sgpr_kernarg_preload_offset 0
		.amdhsa_user_sgpr_private_segment_size 0
		.amdhsa_uses_dynamic_stack 0
		.amdhsa_enable_private_segment 0
		.amdhsa_system_sgpr_workgroup_id_x 1
		.amdhsa_system_sgpr_workgroup_id_y 1
		.amdhsa_system_sgpr_workgroup_id_z 1
		.amdhsa_system_sgpr_workgroup_info 0
		.amdhsa_system_vgpr_workitem_id 0
		.amdhsa_next_free_vgpr 10
		.amdhsa_next_free_sgpr 36
		.amdhsa_accum_offset 12
		.amdhsa_reserve_vcc 1
		.amdhsa_float_round_mode_32 0
		.amdhsa_float_round_mode_16_64 0
		.amdhsa_float_denorm_mode_32 3
		.amdhsa_float_denorm_mode_16_64 3
		.amdhsa_dx10_clamp 1
		.amdhsa_ieee_mode 1
		.amdhsa_fp16_overflow 0
		.amdhsa_tg_split 0
		.amdhsa_exception_fp_ieee_invalid_op 0
		.amdhsa_exception_fp_denorm_src 0
		.amdhsa_exception_fp_ieee_div_zero 0
		.amdhsa_exception_fp_ieee_overflow 0
		.amdhsa_exception_fp_ieee_underflow 0
		.amdhsa_exception_fp_ieee_inexact 0
		.amdhsa_exception_int_div_zero 0
	.end_amdhsa_kernel
	.section	.text._ZL8norm_f32ILi32EEvPKfPfilllf,"axG",@progbits,_ZL8norm_f32ILi32EEvPKfPfilllf,comdat
.Lfunc_end0:
	.size	_ZL8norm_f32ILi32EEvPKfPfilllf, .Lfunc_end0-_ZL8norm_f32ILi32EEvPKfPfilllf
                                        ; -- End function
	.set _ZL8norm_f32ILi32EEvPKfPfilllf.num_vgpr, 10
	.set _ZL8norm_f32ILi32EEvPKfPfilllf.num_agpr, 0
	.set _ZL8norm_f32ILi32EEvPKfPfilllf.numbered_sgpr, 36
	.set _ZL8norm_f32ILi32EEvPKfPfilllf.num_named_barrier, 0
	.set _ZL8norm_f32ILi32EEvPKfPfilllf.private_seg_size, 0
	.set _ZL8norm_f32ILi32EEvPKfPfilllf.uses_vcc, 1
	.set _ZL8norm_f32ILi32EEvPKfPfilllf.uses_flat_scratch, 0
	.set _ZL8norm_f32ILi32EEvPKfPfilllf.has_dyn_sized_stack, 0
	.set _ZL8norm_f32ILi32EEvPKfPfilllf.has_recursion, 0
	.set _ZL8norm_f32ILi32EEvPKfPfilllf.has_indirect_call, 0
	.section	.AMDGPU.csdata,"",@progbits
; Kernel info:
; codeLenInByte = 1000
; TotalNumSgprs: 42
; NumVgprs: 10
; NumAgprs: 0
; TotalNumVgprs: 10
; ScratchSize: 0
; MemoryBound: 0
; FloatMode: 240
; IeeeMode: 1
; LDSByteSize: 0 bytes/workgroup (compile time only)
; SGPRBlocks: 5
; VGPRBlocks: 1
; NumSGPRsForWavesPerEU: 42
; NumVGPRsForWavesPerEU: 10
; AccumOffset: 12
; Occupancy: 8
; WaveLimiterHint : 0
; COMPUTE_PGM_RSRC2:SCRATCH_EN: 0
; COMPUTE_PGM_RSRC2:USER_SGPR: 2
; COMPUTE_PGM_RSRC2:TRAP_HANDLER: 0
; COMPUTE_PGM_RSRC2:TGID_X_EN: 1
; COMPUTE_PGM_RSRC2:TGID_Y_EN: 1
; COMPUTE_PGM_RSRC2:TGID_Z_EN: 1
; COMPUTE_PGM_RSRC2:TIDIG_COMP_CNT: 0
; COMPUTE_PGM_RSRC3_GFX90A:ACCUM_OFFSET: 2
; COMPUTE_PGM_RSRC3_GFX90A:TG_SPLIT: 0
	.section	.text._ZL8norm_f32ILi1024EEvPKfPfilllf,"axG",@progbits,_ZL8norm_f32ILi1024EEvPKfPfilllf,comdat
	.globl	_ZL8norm_f32ILi1024EEvPKfPfilllf ; -- Begin function _ZL8norm_f32ILi1024EEvPKfPfilllf
	.p2align	8
	.type	_ZL8norm_f32ILi1024EEvPKfPfilllf,@function
_ZL8norm_f32ILi1024EEvPKfPfilllf:       ; @_ZL8norm_f32ILi1024EEvPKfPfilllf
; %bb.0:
	s_load_dwordx4 s[8:11], s[0:1], 0x0
	s_load_dword s5, s[0:1], 0x10
	s_load_dwordx4 s[20:23], s[0:1], 0x18
	s_load_dwordx2 s[6:7], s[0:1], 0x28
	s_load_dwordx2 s[12:13], s[0:1], 0x38
	s_ashr_i32 s14, s4, 31
	s_ashr_i32 s15, s3, 31
	s_ashr_i32 s17, s2, 31
	v_mov_b32_e32 v5, 0
	s_waitcnt lgkmcnt(0)
	v_cmp_gt_i32_e32 vcc, s5, v0
	s_mul_i32 s30, s6, s14
	s_mul_hi_u32 s34, s6, s4
	s_mul_i32 s35, s7, s4
	s_mul_i32 s18, s6, s4
	s_mul_i32 s29, s22, s15
	s_mul_hi_u32 s31, s22, s3
	s_mul_i32 s33, s23, s3
	s_mul_i32 s16, s22, s3
	s_mul_i32 s26, s20, s17
	s_mul_hi_u32 s27, s20, s2
	s_mul_i32 s28, s21, s2
	s_mul_i32 s14, s20, s2
	v_lshlrev_b32_e32 v2, 2, v0
	v_mov_b32_e32 v4, v5
	s_and_saveexec_b64 s[20:21], vcc
	s_cbranch_execz .LBB1_4
; %bb.1:
	s_add_i32 s6, s34, s30
	s_add_i32 s15, s31, s29
	;; [unrolled: 1-line block ×4, first 2 shown]
	s_lshl_b64 s[6:7], s[18:19], 2
	s_lshl_b64 s[22:23], s[16:17], 2
	s_add_u32 s17, s6, s22
	s_addc_u32 s19, s7, s23
	s_add_i32 s6, s27, s26
	s_add_i32 s15, s6, s28
	s_lshl_b64 s[6:7], s[14:15], 2
	s_add_u32 s6, s17, s6
	s_addc_u32 s7, s19, s7
	s_add_u32 s6, s8, s6
	v_mov_b32_e32 v3, 0
	s_addc_u32 s7, s9, s7
	v_lshl_add_u64 v[6:7], s[6:7], 0, v[2:3]
	s_mov_b64 s[22:23], 0
	s_mov_b64 s[24:25], 0x1000
	v_mov_b32_e32 v1, v0
	v_mov_b32_e32 v4, v3
	;; [unrolled: 1-line block ×3, first 2 shown]
.LBB1_2:                                ; =>This Inner Loop Header: Depth=1
	global_load_dword v8, v[6:7], off
	v_add_u32_e32 v1, 0x400, v1
	v_cmp_le_i32_e64 s[6:7], s5, v1
	v_lshl_add_u64 v[6:7], v[6:7], 0, s[24:25]
	s_or_b64 s[22:23], s[6:7], s[22:23]
	s_waitcnt vmcnt(0)
	v_mul_f32_e32 v9, v8, v8
	v_pk_add_f32 v[4:5], v[4:5], v[8:9]
	s_andn2_b64 exec, exec, s[22:23]
	s_cbranch_execnz .LBB1_2
; %bb.3:
	s_or_b64 exec, exec, s[22:23]
.LBB1_4:
	s_or_b64 exec, exec, s[20:21]
	v_mbcnt_lo_u32_b32 v1, -1, 0
	v_mbcnt_hi_u32_b32 v10, -1, v1
	v_and_b32_e32 v1, 0x60, v10
	v_add_u32_e32 v11, 32, v1
	v_xor_b32_e32 v1, 16, v10
	v_cmp_lt_i32_e64 s[6:7], v1, v11
	v_xor_b32_e32 v3, 8, v10
	v_xor_b32_e32 v8, 4, v10
	v_cndmask_b32_e64 v1, v10, v1, s[6:7]
	v_lshlrev_b32_e32 v1, 2, v1
	ds_bpermute_b32 v6, v1, v4
	ds_bpermute_b32 v7, v1, v5
	v_cmp_lt_i32_e64 s[6:7], v3, v11
	v_xor_b32_e32 v9, 2, v10
	s_waitcnt lgkmcnt(0)
	v_pk_add_f32 v[4:5], v[4:5], v[6:7]
	v_cndmask_b32_e64 v3, v10, v3, s[6:7]
	v_lshlrev_b32_e32 v3, 2, v3
	ds_bpermute_b32 v6, v3, v4
	ds_bpermute_b32 v7, v3, v5
	v_cmp_lt_i32_e64 s[6:7], v8, v11
	s_waitcnt lgkmcnt(0)
	v_pk_add_f32 v[4:5], v[4:5], v[6:7]
	v_cndmask_b32_e64 v8, v10, v8, s[6:7]
	v_lshlrev_b32_e32 v8, 2, v8
	ds_bpermute_b32 v6, v8, v4
	ds_bpermute_b32 v7, v8, v5
	v_cmp_lt_i32_e64 s[6:7], v9, v11
	s_waitcnt lgkmcnt(0)
	v_pk_add_f32 v[4:5], v[4:5], v[6:7]
	v_cndmask_b32_e64 v9, v10, v9, s[6:7]
	v_lshlrev_b32_e32 v9, 2, v9
	ds_bpermute_b32 v6, v9, v4
	ds_bpermute_b32 v7, v9, v5
	s_waitcnt lgkmcnt(0)
	v_pk_add_f32 v[4:5], v[4:5], v[6:7]
	v_xor_b32_e32 v6, 1, v10
	v_cmp_lt_i32_e64 s[6:7], v6, v11
	v_and_b32_e32 v11, 31, v0
	s_nop 0
	v_cndmask_b32_e64 v6, v10, v6, s[6:7]
	v_lshlrev_b32_e32 v10, 2, v6
	ds_bpermute_b32 v6, v10, v4
	ds_bpermute_b32 v7, v10, v5
	v_cmp_eq_u32_e64 s[6:7], 0, v11
	s_and_saveexec_b64 s[20:21], s[6:7]
	s_cbranch_execz .LBB1_6
; %bb.5:
	v_lshrrev_b32_e32 v12, 2, v0
	v_add_u32_e32 v12, 0, v12
	s_waitcnt lgkmcnt(0)
	v_pk_add_f32 v[4:5], v[4:5], v[6:7]
	ds_write_b64 v12, v[4:5]
.LBB1_6:
	s_or_b64 exec, exec, s[20:21]
	v_lshl_add_u32 v4, v11, 3, 0
	s_waitcnt lgkmcnt(0)
	s_barrier
	ds_read_b64 v[4:5], v4
	s_waitcnt lgkmcnt(0)
	ds_bpermute_b32 v6, v1, v4
	ds_bpermute_b32 v7, v1, v5
	s_waitcnt lgkmcnt(0)
	v_pk_add_f32 v[4:5], v[4:5], v[6:7]
	ds_bpermute_b32 v6, v3, v4
	ds_bpermute_b32 v7, v3, v5
	s_waitcnt lgkmcnt(0)
	v_pk_add_f32 v[4:5], v[4:5], v[6:7]
	;; [unrolled: 4-line block ×4, first 2 shown]
	ds_bpermute_b32 v6, v10, v4
	ds_bpermute_b32 v7, v10, v5
	s_and_saveexec_b64 s[6:7], vcc
	s_cbranch_execz .LBB1_9
; %bb.7:
	v_cvt_f32_i32_e32 v3, s5
	s_waitcnt lgkmcnt(0)
	v_pk_add_f32 v[4:5], v[4:5], v[6:7]
	s_nop 0
	v_div_scale_f32 v1, s[6:7], v3, v3, v4
	v_rcp_f32_e32 v6, v1
	v_div_scale_f32 v7, vcc, v4, v3, v4
	s_load_dword s6, s[0:1], 0x30
	v_fma_f32 v8, -v1, v6, 1.0
	v_fmac_f32_e32 v6, v8, v6
	v_mul_f32_e32 v8, v7, v6
	v_fma_f32 v9, -v1, v8, v7
	v_fmac_f32_e32 v8, v9, v6
	v_fma_f32 v1, -v1, v8, v7
	v_div_scale_f32 v7, s[0:1], v3, v3, v5
	v_rcp_f32_e32 v9, v7
	v_div_fmas_f32 v1, v1, v6, v8
	v_div_fixup_f32 v1, v1, v3, v4
	s_mov_b32 s0, 0x800000
	v_fma_f32 v4, -v7, v9, 1.0
	v_fmac_f32_e32 v9, v4, v9
	v_div_scale_f32 v4, vcc, v5, v3, v5
	v_mul_f32_e32 v6, v4, v9
	v_fma_f32 v8, -v7, v6, v4
	v_fmac_f32_e32 v6, v8, v9
	v_fma_f32 v4, -v7, v6, v4
	v_div_fmas_f32 v4, v4, v9, v6
	v_div_fixup_f32 v3, v4, v3, v5
	v_fma_f32 v3, -v1, v1, v3
	s_waitcnt lgkmcnt(0)
	v_add_f32_e32 v3, s6, v3
	v_cmp_gt_f32_e32 vcc, s0, v3
	s_mul_i32 s0, s13, s4
	s_add_i32 s0, s0, s3
	s_mul_i32 s0, s0, s12
	s_add_i32 s0, s0, s2
	s_add_i32 s2, s34, s30
	;; [unrolled: 1-line block ×3, first 2 shown]
	s_mul_i32 s0, s0, s5
	s_add_i32 s19, s2, s35
	s_add_i32 s17, s4, s33
	s_ashr_i32 s1, s0, 31
	s_lshl_b64 s[2:3], s[18:19], 2
	s_lshl_b64 s[6:7], s[16:17], 2
	s_add_u32 s4, s2, s6
	s_addc_u32 s6, s3, s7
	s_add_i32 s2, s27, s26
	v_mul_f32_e32 v4, 0x4b800000, v3
	s_add_i32 s15, s2, s28
	v_cndmask_b32_e32 v3, v3, v4, vcc
	s_lshl_b64 s[2:3], s[14:15], 2
	v_rsq_f32_e32 v3, v3
	s_add_u32 s2, s4, s2
	s_addc_u32 s3, s6, s3
	s_add_u32 s2, s8, s2
	s_addc_u32 s3, s9, s3
	s_lshl_b64 s[0:1], s[0:1], 2
	v_mul_f32_e32 v4, 0x45800000, v3
	s_add_u32 s0, s10, s0
	v_cndmask_b32_e32 v6, v3, v4, vcc
	v_mov_b32_e32 v3, 0
	s_addc_u32 s1, s11, s1
	v_lshl_add_u64 v[4:5], s[2:3], 0, v[2:3]
	v_lshl_add_u64 v[2:3], s[0:1], 0, v[2:3]
	s_mov_b64 s[0:1], 0
	s_mov_b64 s[2:3], 0x1000
.LBB1_8:                                ; =>This Inner Loop Header: Depth=1
	global_load_dword v7, v[4:5], off
	v_add_u32_e32 v0, 0x400, v0
	v_cmp_le_i32_e32 vcc, s5, v0
	v_lshl_add_u64 v[4:5], v[4:5], 0, s[2:3]
	s_or_b64 s[0:1], vcc, s[0:1]
	s_waitcnt vmcnt(0)
	v_sub_f32_e32 v7, v7, v1
	v_mul_f32_e32 v7, v6, v7
	global_store_dword v[2:3], v7, off
	v_lshl_add_u64 v[2:3], v[2:3], 0, s[2:3]
	s_andn2_b64 exec, exec, s[0:1]
	s_cbranch_execnz .LBB1_8
.LBB1_9:
	s_endpgm
	.section	.rodata,"a",@progbits
	.p2align	6, 0x0
	.amdhsa_kernel _ZL8norm_f32ILi1024EEvPKfPfilllf
		.amdhsa_group_segment_fixed_size 0
		.amdhsa_private_segment_fixed_size 0
		.amdhsa_kernarg_size 312
		.amdhsa_user_sgpr_count 2
		.amdhsa_user_sgpr_dispatch_ptr 0
		.amdhsa_user_sgpr_queue_ptr 0
		.amdhsa_user_sgpr_kernarg_segment_ptr 1
		.amdhsa_user_sgpr_dispatch_id 0
		.amdhsa_user_sgpr_kernarg_preload_length 0
		.amdhsa_user_sgpr_kernarg_preload_offset 0
		.amdhsa_user_sgpr_private_segment_size 0
		.amdhsa_uses_dynamic_stack 0
		.amdhsa_enable_private_segment 0
		.amdhsa_system_sgpr_workgroup_id_x 1
		.amdhsa_system_sgpr_workgroup_id_y 1
		.amdhsa_system_sgpr_workgroup_id_z 1
		.amdhsa_system_sgpr_workgroup_info 0
		.amdhsa_system_vgpr_workitem_id 0
		.amdhsa_next_free_vgpr 13
		.amdhsa_next_free_sgpr 36
		.amdhsa_accum_offset 16
		.amdhsa_reserve_vcc 1
		.amdhsa_float_round_mode_32 0
		.amdhsa_float_round_mode_16_64 0
		.amdhsa_float_denorm_mode_32 3
		.amdhsa_float_denorm_mode_16_64 3
		.amdhsa_dx10_clamp 1
		.amdhsa_ieee_mode 1
		.amdhsa_fp16_overflow 0
		.amdhsa_tg_split 0
		.amdhsa_exception_fp_ieee_invalid_op 0
		.amdhsa_exception_fp_denorm_src 0
		.amdhsa_exception_fp_ieee_div_zero 0
		.amdhsa_exception_fp_ieee_overflow 0
		.amdhsa_exception_fp_ieee_underflow 0
		.amdhsa_exception_fp_ieee_inexact 0
		.amdhsa_exception_int_div_zero 0
	.end_amdhsa_kernel
	.section	.text._ZL8norm_f32ILi1024EEvPKfPfilllf,"axG",@progbits,_ZL8norm_f32ILi1024EEvPKfPfilllf,comdat
.Lfunc_end1:
	.size	_ZL8norm_f32ILi1024EEvPKfPfilllf, .Lfunc_end1-_ZL8norm_f32ILi1024EEvPKfPfilllf
                                        ; -- End function
	.set _ZL8norm_f32ILi1024EEvPKfPfilllf.num_vgpr, 13
	.set _ZL8norm_f32ILi1024EEvPKfPfilllf.num_agpr, 0
	.set _ZL8norm_f32ILi1024EEvPKfPfilllf.numbered_sgpr, 36
	.set _ZL8norm_f32ILi1024EEvPKfPfilllf.num_named_barrier, 0
	.set _ZL8norm_f32ILi1024EEvPKfPfilllf.private_seg_size, 0
	.set _ZL8norm_f32ILi1024EEvPKfPfilllf.uses_vcc, 1
	.set _ZL8norm_f32ILi1024EEvPKfPfilllf.uses_flat_scratch, 0
	.set _ZL8norm_f32ILi1024EEvPKfPfilllf.has_dyn_sized_stack, 0
	.set _ZL8norm_f32ILi1024EEvPKfPfilllf.has_recursion, 0
	.set _ZL8norm_f32ILi1024EEvPKfPfilllf.has_indirect_call, 0
	.section	.AMDGPU.csdata,"",@progbits
; Kernel info:
; codeLenInByte = 1216
; TotalNumSgprs: 42
; NumVgprs: 13
; NumAgprs: 0
; TotalNumVgprs: 13
; ScratchSize: 0
; MemoryBound: 0
; FloatMode: 240
; IeeeMode: 1
; LDSByteSize: 0 bytes/workgroup (compile time only)
; SGPRBlocks: 5
; VGPRBlocks: 1
; NumSGPRsForWavesPerEU: 42
; NumVGPRsForWavesPerEU: 13
; AccumOffset: 16
; Occupancy: 8
; WaveLimiterHint : 0
; COMPUTE_PGM_RSRC2:SCRATCH_EN: 0
; COMPUTE_PGM_RSRC2:USER_SGPR: 2
; COMPUTE_PGM_RSRC2:TRAP_HANDLER: 0
; COMPUTE_PGM_RSRC2:TGID_X_EN: 1
; COMPUTE_PGM_RSRC2:TGID_Y_EN: 1
; COMPUTE_PGM_RSRC2:TGID_Z_EN: 1
; COMPUTE_PGM_RSRC2:TIDIG_COMP_CNT: 0
; COMPUTE_PGM_RSRC3_GFX90A:ACCUM_OFFSET: 3
; COMPUTE_PGM_RSRC3_GFX90A:TG_SPLIT: 0
	.section	.text._ZL14group_norm_f32ILi32EEvPKfPfiif,"axG",@progbits,_ZL14group_norm_f32ILi32EEvPKfPfiif,comdat
	.globl	_ZL14group_norm_f32ILi32EEvPKfPfiif ; -- Begin function _ZL14group_norm_f32ILi32EEvPKfPfiif
	.p2align	8
	.type	_ZL14group_norm_f32ILi32EEvPKfPfiif,@function
_ZL14group_norm_f32ILi32EEvPKfPfiif:    ; @_ZL14group_norm_f32ILi32EEvPKfPfiif
; %bb.0:
	s_load_dwordx8 s[4:11], s[0:1], 0x0
	v_mov_b32_e32 v1, 0
	s_waitcnt lgkmcnt(0)
	s_mul_i32 s11, s8, s2
	s_add_i32 s0, s11, s8
	v_cvt_f64_i32_e32 v[4:5], s9
	v_cvt_f64_u32_e32 v[6:7], s0
	v_min_f64 v[4:5], v[6:7], v[4:5]
	v_add_u32_e32 v2, s11, v0
	v_cvt_i32_f64_e32 v8, v[4:5]
	v_cmp_lt_i32_e64 s[0:1], v2, v8
	v_ashrrev_i32_e32 v3, 31, v2
	s_and_saveexec_b64 s[2:3], s[0:1]
	s_cbranch_execz .LBB2_4
; %bb.1:
	v_lshl_add_u64 v[4:5], v[2:3], 2, s[4:5]
	v_mov_b32_e32 v1, 0
	s_mov_b64 s[12:13], 0
	s_mov_b64 s[14:15], 0x80
	v_mov_b32_e32 v6, v2
.LBB2_2:                                ; =>This Inner Loop Header: Depth=1
	global_load_dword v7, v[4:5], off
	v_add_u32_e32 v6, 32, v6
	v_cmp_ge_i32_e32 vcc, v6, v8
	v_lshl_add_u64 v[4:5], v[4:5], 0, s[14:15]
	s_or_b64 s[12:13], vcc, s[12:13]
	s_waitcnt vmcnt(0)
	v_add_f32_e32 v1, v1, v7
	s_andn2_b64 exec, exec, s[12:13]
	s_cbranch_execnz .LBB2_2
; %bb.3:
	s_or_b64 exec, exec, s[12:13]
.LBB2_4:
	s_or_b64 exec, exec, s[2:3]
	v_mbcnt_lo_u32_b32 v4, -1, 0
	v_mbcnt_hi_u32_b32 v5, -1, v4
	v_and_b32_e32 v4, 0x60, v5
	v_add_u32_e32 v6, 32, v4
	v_xor_b32_e32 v4, 16, v5
	v_cmp_lt_i32_e32 vcc, v4, v6
	v_xor_b32_e32 v7, 8, v5
	v_mov_b32_e32 v14, 0
	v_cndmask_b32_e32 v4, v5, v4, vcc
	v_lshlrev_b32_e32 v9, 2, v4
	ds_bpermute_b32 v4, v9, v1
	v_cmp_lt_i32_e32 vcc, v7, v6
	s_waitcnt lgkmcnt(0)
	v_add_f32_e32 v1, v1, v4
	v_cndmask_b32_e32 v4, v5, v7, vcc
	v_lshlrev_b32_e32 v10, 2, v4
	ds_bpermute_b32 v4, v10, v1
	v_xor_b32_e32 v7, 4, v5
	v_cmp_lt_i32_e32 vcc, v7, v6
	s_waitcnt lgkmcnt(0)
	v_add_f32_e32 v1, v1, v4
	v_cndmask_b32_e32 v4, v5, v7, vcc
	v_lshlrev_b32_e32 v11, 2, v4
	ds_bpermute_b32 v4, v11, v1
	v_xor_b32_e32 v7, 2, v5
	;; [unrolled: 7-line block ×3, first 2 shown]
	v_cmp_lt_i32_e32 vcc, v7, v6
	s_waitcnt lgkmcnt(0)
	v_add_f32_e32 v4, v1, v4
	v_cndmask_b32_e32 v1, v5, v7, vcc
	v_lshlrev_b32_e32 v13, 2, v1
	ds_bpermute_b32 v5, v13, v4
	v_cvt_f32_i32_e32 v1, s8
	s_and_saveexec_b64 s[2:3], s[0:1]
	s_cbranch_execz .LBB2_8
; %bb.5:
	s_waitcnt lgkmcnt(0)
	v_add_f32_e32 v4, v4, v5
	v_div_scale_f32 v5, s[8:9], v1, v1, v4
	v_rcp_f32_e32 v6, v5
	v_div_scale_f32 v7, vcc, v4, v1, v4
	s_mov_b64 s[8:9], 0x80
	v_fma_f32 v14, -v5, v6, 1.0
	v_fmac_f32_e32 v6, v14, v6
	v_mul_f32_e32 v14, v7, v6
	v_fma_f32 v15, -v5, v14, v7
	v_fmac_f32_e32 v14, v15, v6
	v_fma_f32 v5, -v5, v14, v7
	v_div_fmas_f32 v5, v5, v6, v14
	v_lshlrev_b64 v[6:7], 2, v[2:3]
	v_div_fixup_f32 v15, v5, v1, v4
	v_lshl_add_u64 v[4:5], s[4:5], 0, v[6:7]
	v_lshl_add_u64 v[6:7], s[6:7], 0, v[6:7]
	v_mov_b32_e32 v14, 0
	s_mov_b64 s[4:5], 0
	v_mov_b32_e32 v3, v2
.LBB2_6:                                ; =>This Inner Loop Header: Depth=1
	global_load_dword v16, v[4:5], off
	v_add_u32_e32 v3, 32, v3
	v_cmp_ge_i32_e32 vcc, v3, v8
	v_lshl_add_u64 v[4:5], v[4:5], 0, s[8:9]
	s_or_b64 s[4:5], vcc, s[4:5]
	s_waitcnt vmcnt(0)
	v_sub_f32_e32 v16, v16, v15
	global_store_dword v[6:7], v16, off
	v_fmac_f32_e32 v14, v16, v16
	v_lshl_add_u64 v[6:7], v[6:7], 0, s[8:9]
	s_andn2_b64 exec, exec, s[4:5]
	s_cbranch_execnz .LBB2_6
; %bb.7:
	s_or_b64 exec, exec, s[4:5]
.LBB2_8:
	s_or_b64 exec, exec, s[2:3]
	ds_bpermute_b32 v3, v9, v14
	s_waitcnt lgkmcnt(0)
	v_add_f32_e32 v3, v14, v3
	ds_bpermute_b32 v4, v10, v3
	s_waitcnt lgkmcnt(0)
	v_add_f32_e32 v3, v3, v4
	;; [unrolled: 3-line block ×4, first 2 shown]
	ds_bpermute_b32 v4, v13, v3
	s_and_saveexec_b64 s[2:3], s[0:1]
	s_cbranch_execz .LBB2_16
; %bb.9:
	s_waitcnt lgkmcnt(0)
	v_add_f32_e32 v3, v3, v4
	v_div_scale_f32 v4, s[0:1], v1, v1, v3
	v_rcp_f32_e32 v5, v4
	v_div_scale_f32 v6, vcc, v3, v1, v3
	s_mov_b32 s0, 0x800000
	v_fma_f32 v7, -v4, v5, 1.0
	v_fmac_f32_e32 v5, v7, v5
	v_mul_f32_e32 v7, v6, v5
	v_fma_f32 v9, -v4, v7, v6
	v_fmac_f32_e32 v7, v9, v5
	v_fma_f32 v4, -v4, v7, v6
	v_div_fmas_f32 v4, v4, v5, v7
	v_div_fixup_f32 v1, v4, v1, v3
	v_add_f32_e32 v1, s10, v1
	v_mul_f32_e32 v3, 0x4b800000, v1
	v_cmp_gt_f32_e32 vcc, s0, v1
	s_mov_b64 s[2:3], -1
	s_nop 0
	v_cndmask_b32_e32 v1, v1, v3, vcc
	v_rsq_f32_e32 v1, v1
	s_nop 0
	v_mul_f32_e32 v3, 0x45800000, v1
	v_cndmask_b32_e32 v4, v1, v3, vcc
	v_add_u32_e32 v3, 32, v2
	v_max_i32_e32 v1, v8, v3
	v_xad_u32 v1, s11, -1, v1
	v_sub_u32_e32 v0, v1, v0
	v_cmp_lt_u32_e32 vcc, 31, v0
	s_and_saveexec_b64 s[0:1], vcc
	s_cbranch_execz .LBB2_13
; %bb.10:
	v_lshrrev_b32_e32 v0, 5, v0
	v_add_u32_e32 v6, 1, v0
	v_and_b32_e32 v7, 0xffffffe, v6
	v_mov_b32_e32 v5, v4
	s_mov_b64 s[2:3], 0
	v_mov_b32_e32 v9, v7
	v_mov_b64_e32 v[0:1], v[2:3]
.LBB2_11:                               ; =>This Inner Loop Header: Depth=1
	v_ashrrev_i32_e32 v13, 31, v0
	v_mov_b32_e32 v12, v0
	v_ashrrev_i32_e32 v11, 31, v1
	v_mov_b32_e32 v10, v1
	v_lshl_add_u64 v[12:13], v[12:13], 2, s[6:7]
	v_lshl_add_u64 v[10:11], v[10:11], 2, s[6:7]
	global_load_dword v14, v[12:13], off
	global_load_dword v15, v[10:11], off
	v_add_u32_e32 v9, -2, v9
	v_cmp_eq_u32_e32 vcc, 0, v9
	v_add_u32_e32 v1, 64, v1
	v_add_u32_e32 v0, 64, v0
	s_or_b64 s[2:3], vcc, s[2:3]
	s_waitcnt vmcnt(0)
	v_pk_mul_f32 v[14:15], v[4:5], v[14:15]
	global_store_dword v[12:13], v14, off
	global_store_dword v[10:11], v15, off
	s_andn2_b64 exec, exec, s[2:3]
	s_cbranch_execnz .LBB2_11
; %bb.12:
	s_or_b64 exec, exec, s[2:3]
	v_cmp_ne_u32_e32 vcc, v6, v7
	v_lshl_add_u32 v2, v7, 5, v2
	s_orn2_b64 s[2:3], vcc, exec
.LBB2_13:
	s_or_b64 exec, exec, s[0:1]
	s_and_b64 exec, exec, s[2:3]
	s_cbranch_execz .LBB2_16
; %bb.14:
	v_ashrrev_i32_e32 v3, 31, v2
	v_lshl_add_u64 v[0:1], v[2:3], 2, s[6:7]
	s_mov_b64 s[0:1], 0
	s_mov_b64 s[2:3], 0x80
.LBB2_15:                               ; =>This Inner Loop Header: Depth=1
	global_load_dword v3, v[0:1], off
	v_add_u32_e32 v2, 32, v2
	v_cmp_ge_i32_e32 vcc, v2, v8
	s_or_b64 s[0:1], vcc, s[0:1]
	s_waitcnt vmcnt(0)
	v_mul_f32_e32 v3, v4, v3
	global_store_dword v[0:1], v3, off
	v_lshl_add_u64 v[0:1], v[0:1], 0, s[2:3]
	s_andn2_b64 exec, exec, s[0:1]
	s_cbranch_execnz .LBB2_15
.LBB2_16:
	s_endpgm
	.section	.rodata,"a",@progbits
	.p2align	6, 0x0
	.amdhsa_kernel _ZL14group_norm_f32ILi32EEvPKfPfiif
		.amdhsa_group_segment_fixed_size 0
		.amdhsa_private_segment_fixed_size 0
		.amdhsa_kernarg_size 28
		.amdhsa_user_sgpr_count 2
		.amdhsa_user_sgpr_dispatch_ptr 0
		.amdhsa_user_sgpr_queue_ptr 0
		.amdhsa_user_sgpr_kernarg_segment_ptr 1
		.amdhsa_user_sgpr_dispatch_id 0
		.amdhsa_user_sgpr_kernarg_preload_length 0
		.amdhsa_user_sgpr_kernarg_preload_offset 0
		.amdhsa_user_sgpr_private_segment_size 0
		.amdhsa_uses_dynamic_stack 0
		.amdhsa_enable_private_segment 0
		.amdhsa_system_sgpr_workgroup_id_x 1
		.amdhsa_system_sgpr_workgroup_id_y 0
		.amdhsa_system_sgpr_workgroup_id_z 0
		.amdhsa_system_sgpr_workgroup_info 0
		.amdhsa_system_vgpr_workitem_id 0
		.amdhsa_next_free_vgpr 17
		.amdhsa_next_free_sgpr 16
		.amdhsa_accum_offset 20
		.amdhsa_reserve_vcc 1
		.amdhsa_float_round_mode_32 0
		.amdhsa_float_round_mode_16_64 0
		.amdhsa_float_denorm_mode_32 3
		.amdhsa_float_denorm_mode_16_64 3
		.amdhsa_dx10_clamp 1
		.amdhsa_ieee_mode 1
		.amdhsa_fp16_overflow 0
		.amdhsa_tg_split 0
		.amdhsa_exception_fp_ieee_invalid_op 0
		.amdhsa_exception_fp_denorm_src 0
		.amdhsa_exception_fp_ieee_div_zero 0
		.amdhsa_exception_fp_ieee_overflow 0
		.amdhsa_exception_fp_ieee_underflow 0
		.amdhsa_exception_fp_ieee_inexact 0
		.amdhsa_exception_int_div_zero 0
	.end_amdhsa_kernel
	.section	.text._ZL14group_norm_f32ILi32EEvPKfPfiif,"axG",@progbits,_ZL14group_norm_f32ILi32EEvPKfPfiif,comdat
.Lfunc_end2:
	.size	_ZL14group_norm_f32ILi32EEvPKfPfiif, .Lfunc_end2-_ZL14group_norm_f32ILi32EEvPKfPfiif
                                        ; -- End function
	.set _ZL14group_norm_f32ILi32EEvPKfPfiif.num_vgpr, 17
	.set _ZL14group_norm_f32ILi32EEvPKfPfiif.num_agpr, 0
	.set _ZL14group_norm_f32ILi32EEvPKfPfiif.numbered_sgpr, 16
	.set _ZL14group_norm_f32ILi32EEvPKfPfiif.num_named_barrier, 0
	.set _ZL14group_norm_f32ILi32EEvPKfPfiif.private_seg_size, 0
	.set _ZL14group_norm_f32ILi32EEvPKfPfiif.uses_vcc, 1
	.set _ZL14group_norm_f32ILi32EEvPKfPfiif.uses_flat_scratch, 0
	.set _ZL14group_norm_f32ILi32EEvPKfPfiif.has_dyn_sized_stack, 0
	.set _ZL14group_norm_f32ILi32EEvPKfPfiif.has_recursion, 0
	.set _ZL14group_norm_f32ILi32EEvPKfPfiif.has_indirect_call, 0
	.section	.AMDGPU.csdata,"",@progbits
; Kernel info:
; codeLenInByte = 1036
; TotalNumSgprs: 22
; NumVgprs: 17
; NumAgprs: 0
; TotalNumVgprs: 17
; ScratchSize: 0
; MemoryBound: 0
; FloatMode: 240
; IeeeMode: 1
; LDSByteSize: 0 bytes/workgroup (compile time only)
; SGPRBlocks: 2
; VGPRBlocks: 2
; NumSGPRsForWavesPerEU: 22
; NumVGPRsForWavesPerEU: 17
; AccumOffset: 20
; Occupancy: 8
; WaveLimiterHint : 0
; COMPUTE_PGM_RSRC2:SCRATCH_EN: 0
; COMPUTE_PGM_RSRC2:USER_SGPR: 2
; COMPUTE_PGM_RSRC2:TRAP_HANDLER: 0
; COMPUTE_PGM_RSRC2:TGID_X_EN: 1
; COMPUTE_PGM_RSRC2:TGID_Y_EN: 0
; COMPUTE_PGM_RSRC2:TGID_Z_EN: 0
; COMPUTE_PGM_RSRC2:TIDIG_COMP_CNT: 0
; COMPUTE_PGM_RSRC3_GFX90A:ACCUM_OFFSET: 4
; COMPUTE_PGM_RSRC3_GFX90A:TG_SPLIT: 0
	.section	.text._ZL14group_norm_f32ILi1024EEvPKfPfiif,"axG",@progbits,_ZL14group_norm_f32ILi1024EEvPKfPfiif,comdat
	.globl	_ZL14group_norm_f32ILi1024EEvPKfPfiif ; -- Begin function _ZL14group_norm_f32ILi1024EEvPKfPfiif
	.p2align	8
	.type	_ZL14group_norm_f32ILi1024EEvPKfPfiif,@function
_ZL14group_norm_f32ILi1024EEvPKfPfiif:  ; @_ZL14group_norm_f32ILi1024EEvPKfPfiif
; %bb.0:
	s_load_dwordx8 s[4:11], s[0:1], 0x0
	s_waitcnt lgkmcnt(0)
	s_mul_i32 s11, s8, s2
	s_add_i32 s0, s11, s8
	v_cvt_f64_i32_e32 v[4:5], s9
	v_cvt_f64_u32_e32 v[6:7], s0
	v_min_f64 v[4:5], v[6:7], v[4:5]
	v_add_u32_e32 v2, s11, v0
	v_cvt_i32_f64_e32 v8, v[4:5]
	v_cmp_lt_i32_e64 s[0:1], v2, v8
	v_mov_b32_e32 v6, 0
	v_ashrrev_i32_e32 v3, 31, v2
	s_and_saveexec_b64 s[2:3], s[0:1]
	s_cbranch_execz .LBB3_4
; %bb.1:
	v_lshl_add_u64 v[4:5], v[2:3], 2, s[4:5]
	v_mov_b32_e32 v6, 0
	s_mov_b64 s[12:13], 0
	s_mov_b64 s[14:15], 0x1000
	v_mov_b32_e32 v1, v2
.LBB3_2:                                ; =>This Inner Loop Header: Depth=1
	global_load_dword v7, v[4:5], off
	v_add_u32_e32 v1, 0x400, v1
	v_cmp_ge_i32_e32 vcc, v1, v8
	v_lshl_add_u64 v[4:5], v[4:5], 0, s[14:15]
	s_or_b64 s[12:13], vcc, s[12:13]
	s_waitcnt vmcnt(0)
	v_add_f32_e32 v6, v6, v7
	s_andn2_b64 exec, exec, s[12:13]
	s_cbranch_execnz .LBB3_2
; %bb.3:
	s_or_b64 exec, exec, s[12:13]
.LBB3_4:
	s_or_b64 exec, exec, s[2:3]
	v_mbcnt_lo_u32_b32 v1, -1, 0
	v_mbcnt_hi_u32_b32 v4, -1, v1
	v_and_b32_e32 v1, 0x60, v4
	v_add_u32_e32 v7, 32, v1
	v_xor_b32_e32 v1, 16, v4
	v_cmp_lt_i32_e32 vcc, v1, v7
	v_xor_b32_e32 v9, 8, v4
	v_xor_b32_e32 v10, 4, v4
	v_cndmask_b32_e32 v1, v4, v1, vcc
	v_lshlrev_b32_e32 v1, 2, v1
	ds_bpermute_b32 v5, v1, v6
	v_cmp_lt_i32_e32 vcc, v9, v7
	v_xor_b32_e32 v11, 2, v4
	v_xor_b32_e32 v12, 1, v4
	v_lshrrev_b32_e32 v14, 3, v0
	s_waitcnt lgkmcnt(0)
	v_add_f32_e32 v5, v6, v5
	v_cndmask_b32_e32 v6, v4, v9, vcc
	v_lshlrev_b32_e32 v9, 2, v6
	ds_bpermute_b32 v6, v9, v5
	v_cmp_lt_i32_e32 vcc, v10, v7
	s_waitcnt lgkmcnt(0)
	v_add_f32_e32 v5, v5, v6
	v_cndmask_b32_e32 v6, v4, v10, vcc
	v_lshlrev_b32_e32 v10, 2, v6
	ds_bpermute_b32 v6, v10, v5
	v_cmp_lt_i32_e32 vcc, v11, v7
	;; [unrolled: 6-line block ×3, first 2 shown]
	s_waitcnt lgkmcnt(0)
	v_add_f32_e32 v5, v5, v6
	v_cndmask_b32_e32 v4, v4, v12, vcc
	v_lshlrev_b32_e32 v12, 2, v4
	ds_bpermute_b32 v6, v12, v5
	v_and_b32_e32 v4, 31, v0
	v_cmp_eq_u32_e64 s[2:3], 0, v4
	s_and_saveexec_b64 s[12:13], s[2:3]
	s_cbranch_execz .LBB3_6
; %bb.5:
	s_waitcnt lgkmcnt(0)
	v_add_f32_e32 v5, v5, v6
	v_add_u32_e32 v6, 0, v14
	ds_write_b32 v6, v5
.LBB3_6:
	s_or_b64 exec, exec, s[12:13]
	v_lshl_add_u32 v15, v4, 2, 0
	s_waitcnt lgkmcnt(0)
	s_barrier
	ds_read_b32 v4, v15
	v_cvt_f32_i32_e32 v13, s8
	v_mov_b32_e32 v16, 0
	s_waitcnt lgkmcnt(0)
	ds_bpermute_b32 v5, v1, v4
	s_waitcnt lgkmcnt(0)
	v_add_f32_e32 v4, v4, v5
	ds_bpermute_b32 v5, v9, v4
	s_waitcnt lgkmcnt(0)
	v_add_f32_e32 v4, v4, v5
	;; [unrolled: 3-line block ×4, first 2 shown]
	ds_bpermute_b32 v5, v12, v4
	s_and_saveexec_b64 s[8:9], s[0:1]
	s_cbranch_execz .LBB3_10
; %bb.7:
	s_waitcnt lgkmcnt(0)
	v_add_f32_e32 v4, v4, v5
	v_div_scale_f32 v5, s[12:13], v13, v13, v4
	v_rcp_f32_e32 v6, v5
	v_div_scale_f32 v7, vcc, v4, v13, v4
	s_mov_b64 s[12:13], 0x1000
	v_fma_f32 v16, -v5, v6, 1.0
	v_fmac_f32_e32 v6, v16, v6
	v_mul_f32_e32 v16, v7, v6
	v_fma_f32 v17, -v5, v16, v7
	v_fmac_f32_e32 v16, v17, v6
	v_fma_f32 v5, -v5, v16, v7
	v_div_fmas_f32 v5, v5, v6, v16
	v_lshlrev_b64 v[6:7], 2, v[2:3]
	v_div_fixup_f32 v17, v5, v13, v4
	v_lshl_add_u64 v[4:5], s[4:5], 0, v[6:7]
	v_lshl_add_u64 v[6:7], s[6:7], 0, v[6:7]
	v_mov_b32_e32 v16, 0
	s_mov_b64 s[4:5], 0
	v_mov_b32_e32 v3, v2
.LBB3_8:                                ; =>This Inner Loop Header: Depth=1
	global_load_dword v18, v[4:5], off
	v_add_u32_e32 v3, 0x400, v3
	v_cmp_ge_i32_e32 vcc, v3, v8
	v_lshl_add_u64 v[4:5], v[4:5], 0, s[12:13]
	s_or_b64 s[4:5], vcc, s[4:5]
	s_waitcnt vmcnt(0)
	v_sub_f32_e32 v18, v18, v17
	global_store_dword v[6:7], v18, off
	v_fmac_f32_e32 v16, v18, v18
	v_lshl_add_u64 v[6:7], v[6:7], 0, s[12:13]
	s_andn2_b64 exec, exec, s[4:5]
	s_cbranch_execnz .LBB3_8
; %bb.9:
	s_or_b64 exec, exec, s[4:5]
.LBB3_10:
	s_or_b64 exec, exec, s[8:9]
	ds_bpermute_b32 v3, v1, v16
	s_waitcnt lgkmcnt(0)
	v_add_f32_e32 v3, v16, v3
	ds_bpermute_b32 v4, v9, v3
	s_waitcnt lgkmcnt(0)
	v_add_f32_e32 v3, v3, v4
	ds_bpermute_b32 v4, v10, v3
	s_waitcnt lgkmcnt(0)
	v_add_f32_e32 v3, v3, v4
	ds_bpermute_b32 v4, v11, v3
	s_waitcnt lgkmcnt(0)
	v_add_f32_e32 v3, v3, v4
	ds_bpermute_b32 v4, v12, v3
	s_and_saveexec_b64 s[4:5], s[2:3]
	s_cbranch_execz .LBB3_12
; %bb.11:
	s_waitcnt lgkmcnt(0)
	v_add_f32_e32 v3, v3, v4
	v_add_u32_e32 v4, 0, v14
	ds_write_b32 v4, v3
.LBB3_12:
	s_or_b64 exec, exec, s[4:5]
	s_waitcnt lgkmcnt(0)
	s_barrier
	ds_read_b32 v3, v15
	s_waitcnt lgkmcnt(0)
	ds_bpermute_b32 v1, v1, v3
	s_waitcnt lgkmcnt(0)
	v_add_f32_e32 v1, v3, v1
	ds_bpermute_b32 v3, v9, v1
	s_waitcnt lgkmcnt(0)
	v_add_f32_e32 v1, v1, v3
	ds_bpermute_b32 v3, v10, v1
	s_waitcnt lgkmcnt(0)
	v_add_f32_e32 v1, v1, v3
	ds_bpermute_b32 v3, v11, v1
	s_waitcnt lgkmcnt(0)
	v_add_f32_e32 v1, v1, v3
	ds_bpermute_b32 v3, v12, v1
	s_and_saveexec_b64 s[2:3], s[0:1]
	s_cbranch_execz .LBB3_20
; %bb.13:
	s_waitcnt lgkmcnt(0)
	v_add_f32_e32 v1, v1, v3
	v_div_scale_f32 v3, s[0:1], v13, v13, v1
	v_rcp_f32_e32 v4, v3
	v_div_scale_f32 v5, vcc, v1, v13, v1
	s_mov_b32 s0, 0x800000
	v_fma_f32 v6, -v3, v4, 1.0
	v_fmac_f32_e32 v4, v6, v4
	v_mul_f32_e32 v6, v5, v4
	v_fma_f32 v7, -v3, v6, v5
	v_fmac_f32_e32 v6, v7, v4
	v_fma_f32 v3, -v3, v6, v5
	v_div_fmas_f32 v3, v3, v4, v6
	v_div_fixup_f32 v1, v3, v13, v1
	v_add_f32_e32 v1, s10, v1
	v_mul_f32_e32 v3, 0x4b800000, v1
	v_cmp_gt_f32_e32 vcc, s0, v1
	s_movk_i32 s0, 0x3ff
	s_mov_b64 s[2:3], -1
	v_cndmask_b32_e32 v1, v1, v3, vcc
	v_rsq_f32_e32 v1, v1
	s_nop 0
	v_mul_f32_e32 v3, 0x45800000, v1
	v_cndmask_b32_e32 v4, v1, v3, vcc
	v_add_u32_e32 v3, 0x400, v2
	v_max_i32_e32 v1, v8, v3
	v_xad_u32 v1, s11, -1, v1
	v_sub_u32_e32 v0, v1, v0
	v_cmp_lt_u32_e32 vcc, s0, v0
	s_and_saveexec_b64 s[0:1], vcc
	s_cbranch_execz .LBB3_17
; %bb.14:
	v_lshrrev_b32_e32 v0, 10, v0
	v_add_u32_e32 v6, 1, v0
	v_and_b32_e32 v7, 0x7ffffe, v6
	v_mov_b32_e32 v5, v4
	s_mov_b64 s[2:3], 0
	v_mov_b32_e32 v9, v7
	v_mov_b64_e32 v[0:1], v[2:3]
.LBB3_15:                               ; =>This Inner Loop Header: Depth=1
	v_ashrrev_i32_e32 v13, 31, v0
	v_mov_b32_e32 v12, v0
	v_ashrrev_i32_e32 v11, 31, v1
	v_mov_b32_e32 v10, v1
	v_lshl_add_u64 v[12:13], v[12:13], 2, s[6:7]
	v_lshl_add_u64 v[10:11], v[10:11], 2, s[6:7]
	global_load_dword v14, v[12:13], off
	global_load_dword v15, v[10:11], off
	v_add_u32_e32 v9, -2, v9
	v_cmp_eq_u32_e32 vcc, 0, v9
	v_add_u32_e32 v1, 0x800, v1
	v_add_u32_e32 v0, 0x800, v0
	s_or_b64 s[2:3], vcc, s[2:3]
	s_waitcnt vmcnt(0)
	v_pk_mul_f32 v[14:15], v[4:5], v[14:15]
	global_store_dword v[12:13], v14, off
	global_store_dword v[10:11], v15, off
	s_andn2_b64 exec, exec, s[2:3]
	s_cbranch_execnz .LBB3_15
; %bb.16:
	s_or_b64 exec, exec, s[2:3]
	v_cmp_ne_u32_e32 vcc, v6, v7
	v_lshl_add_u32 v2, v7, 10, v2
	s_orn2_b64 s[2:3], vcc, exec
.LBB3_17:
	s_or_b64 exec, exec, s[0:1]
	s_and_b64 exec, exec, s[2:3]
	s_cbranch_execz .LBB3_20
; %bb.18:
	v_ashrrev_i32_e32 v3, 31, v2
	v_lshl_add_u64 v[0:1], v[2:3], 2, s[6:7]
	s_mov_b64 s[0:1], 0
	s_mov_b64 s[2:3], 0x1000
.LBB3_19:                               ; =>This Inner Loop Header: Depth=1
	global_load_dword v3, v[0:1], off
	v_add_u32_e32 v2, 0x400, v2
	v_cmp_ge_i32_e32 vcc, v2, v8
	s_or_b64 s[0:1], vcc, s[0:1]
	s_waitcnt vmcnt(0)
	v_mul_f32_e32 v3, v4, v3
	global_store_dword v[0:1], v3, off
	v_lshl_add_u64 v[0:1], v[0:1], 0, s[2:3]
	s_andn2_b64 exec, exec, s[0:1]
	s_cbranch_execnz .LBB3_19
.LBB3_20:
	s_endpgm
	.section	.rodata,"a",@progbits
	.p2align	6, 0x0
	.amdhsa_kernel _ZL14group_norm_f32ILi1024EEvPKfPfiif
		.amdhsa_group_segment_fixed_size 0
		.amdhsa_private_segment_fixed_size 0
		.amdhsa_kernarg_size 28
		.amdhsa_user_sgpr_count 2
		.amdhsa_user_sgpr_dispatch_ptr 0
		.amdhsa_user_sgpr_queue_ptr 0
		.amdhsa_user_sgpr_kernarg_segment_ptr 1
		.amdhsa_user_sgpr_dispatch_id 0
		.amdhsa_user_sgpr_kernarg_preload_length 0
		.amdhsa_user_sgpr_kernarg_preload_offset 0
		.amdhsa_user_sgpr_private_segment_size 0
		.amdhsa_uses_dynamic_stack 0
		.amdhsa_enable_private_segment 0
		.amdhsa_system_sgpr_workgroup_id_x 1
		.amdhsa_system_sgpr_workgroup_id_y 0
		.amdhsa_system_sgpr_workgroup_id_z 0
		.amdhsa_system_sgpr_workgroup_info 0
		.amdhsa_system_vgpr_workitem_id 0
		.amdhsa_next_free_vgpr 19
		.amdhsa_next_free_sgpr 16
		.amdhsa_accum_offset 20
		.amdhsa_reserve_vcc 1
		.amdhsa_float_round_mode_32 0
		.amdhsa_float_round_mode_16_64 0
		.amdhsa_float_denorm_mode_32 3
		.amdhsa_float_denorm_mode_16_64 3
		.amdhsa_dx10_clamp 1
		.amdhsa_ieee_mode 1
		.amdhsa_fp16_overflow 0
		.amdhsa_tg_split 0
		.amdhsa_exception_fp_ieee_invalid_op 0
		.amdhsa_exception_fp_denorm_src 0
		.amdhsa_exception_fp_ieee_div_zero 0
		.amdhsa_exception_fp_ieee_overflow 0
		.amdhsa_exception_fp_ieee_underflow 0
		.amdhsa_exception_fp_ieee_inexact 0
		.amdhsa_exception_int_div_zero 0
	.end_amdhsa_kernel
	.section	.text._ZL14group_norm_f32ILi1024EEvPKfPfiif,"axG",@progbits,_ZL14group_norm_f32ILi1024EEvPKfPfiif,comdat
.Lfunc_end3:
	.size	_ZL14group_norm_f32ILi1024EEvPKfPfiif, .Lfunc_end3-_ZL14group_norm_f32ILi1024EEvPKfPfiif
                                        ; -- End function
	.set _ZL14group_norm_f32ILi1024EEvPKfPfiif.num_vgpr, 19
	.set _ZL14group_norm_f32ILi1024EEvPKfPfiif.num_agpr, 0
	.set _ZL14group_norm_f32ILi1024EEvPKfPfiif.numbered_sgpr, 16
	.set _ZL14group_norm_f32ILi1024EEvPKfPfiif.num_named_barrier, 0
	.set _ZL14group_norm_f32ILi1024EEvPKfPfiif.private_seg_size, 0
	.set _ZL14group_norm_f32ILi1024EEvPKfPfiif.uses_vcc, 1
	.set _ZL14group_norm_f32ILi1024EEvPKfPfiif.uses_flat_scratch, 0
	.set _ZL14group_norm_f32ILi1024EEvPKfPfiif.has_dyn_sized_stack, 0
	.set _ZL14group_norm_f32ILi1024EEvPKfPfiif.has_recursion, 0
	.set _ZL14group_norm_f32ILi1024EEvPKfPfiif.has_indirect_call, 0
	.section	.AMDGPU.csdata,"",@progbits
; Kernel info:
; codeLenInByte = 1332
; TotalNumSgprs: 22
; NumVgprs: 19
; NumAgprs: 0
; TotalNumVgprs: 19
; ScratchSize: 0
; MemoryBound: 0
; FloatMode: 240
; IeeeMode: 1
; LDSByteSize: 0 bytes/workgroup (compile time only)
; SGPRBlocks: 2
; VGPRBlocks: 2
; NumSGPRsForWavesPerEU: 22
; NumVGPRsForWavesPerEU: 19
; AccumOffset: 20
; Occupancy: 8
; WaveLimiterHint : 0
; COMPUTE_PGM_RSRC2:SCRATCH_EN: 0
; COMPUTE_PGM_RSRC2:USER_SGPR: 2
; COMPUTE_PGM_RSRC2:TRAP_HANDLER: 0
; COMPUTE_PGM_RSRC2:TGID_X_EN: 1
; COMPUTE_PGM_RSRC2:TGID_Y_EN: 0
; COMPUTE_PGM_RSRC2:TGID_Z_EN: 0
; COMPUTE_PGM_RSRC2:TIDIG_COMP_CNT: 0
; COMPUTE_PGM_RSRC3_GFX90A:ACCUM_OFFSET: 4
; COMPUTE_PGM_RSRC3_GFX90A:TG_SPLIT: 0
	.section	.text._ZL12rms_norm_f32ILi256ELb0ELb0EEvPKfPfilllfS1_lll15HIP_vector_typeIjLj3EES4_S4_S4_S1_lllS4_S4_S4_S4_,"axG",@progbits,_ZL12rms_norm_f32ILi256ELb0ELb0EEvPKfPfilllfS1_lll15HIP_vector_typeIjLj3EES4_S4_S4_S1_lllS4_S4_S4_S4_,comdat
	.globl	_ZL12rms_norm_f32ILi256ELb0ELb0EEvPKfPfilllfS1_lll15HIP_vector_typeIjLj3EES4_S4_S4_S1_lllS4_S4_S4_S4_ ; -- Begin function _ZL12rms_norm_f32ILi256ELb0ELb0EEvPKfPfilllfS1_lll15HIP_vector_typeIjLj3EES4_S4_S4_S1_lllS4_S4_S4_S4_
	.p2align	8
	.type	_ZL12rms_norm_f32ILi256ELb0ELb0EEvPKfPfilllfS1_lll15HIP_vector_typeIjLj3EES4_S4_S4_S1_lllS4_S4_S4_S4_,@function
_ZL12rms_norm_f32ILi256ELb0ELb0EEvPKfPfilllfS1_lll15HIP_vector_typeIjLj3EES4_S4_S4_S1_lllS4_S4_S4_S4_: ; @_ZL12rms_norm_f32ILi256ELb0ELb0EEvPKfPfilllfS1_lll15HIP_vector_typeIjLj3EES4_S4_S4_S1_lllS4_S4_S4_S4_
; %bb.0:
	s_load_dwordx4 s[8:11], s[0:1], 0x0
	s_load_dword s5, s[0:1], 0x10
	s_load_dwordx4 s[20:23], s[0:1], 0x18
	s_load_dwordx2 s[6:7], s[0:1], 0x28
	s_load_dwordx2 s[12:13], s[0:1], 0xd8
	s_ashr_i32 s14, s4, 31
	s_ashr_i32 s15, s3, 31
	;; [unrolled: 1-line block ×3, first 2 shown]
	s_waitcnt lgkmcnt(0)
	v_cmp_gt_i32_e32 vcc, s5, v0
	v_mov_b32_e32 v3, 0
	s_mul_i32 s30, s6, s14
	s_mul_hi_u32 s34, s6, s4
	s_mul_i32 s35, s7, s4
	s_mul_i32 s18, s6, s4
	s_mul_i32 s29, s22, s15
	s_mul_hi_u32 s31, s22, s3
	s_mul_i32 s33, s23, s3
	s_mul_i32 s16, s22, s3
	;; [unrolled: 4-line block ×3, first 2 shown]
	v_lshlrev_b32_e32 v2, 2, v0
	s_and_saveexec_b64 s[20:21], vcc
	s_cbranch_execz .LBB4_4
; %bb.1:
	s_add_i32 s6, s34, s30
	s_add_i32 s15, s31, s29
	;; [unrolled: 1-line block ×4, first 2 shown]
	s_lshl_b64 s[6:7], s[18:19], 2
	s_lshl_b64 s[22:23], s[16:17], 2
	s_add_u32 s17, s6, s22
	s_addc_u32 s19, s7, s23
	s_add_i32 s6, s27, s26
	s_add_i32 s15, s6, s28
	s_lshl_b64 s[6:7], s[14:15], 2
	s_add_u32 s6, s17, s6
	s_addc_u32 s7, s19, s7
	s_add_u32 s6, s8, s6
	v_mov_b32_e32 v3, 0
	s_addc_u32 s7, s9, s7
	v_lshl_add_u64 v[4:5], s[6:7], 0, v[2:3]
	s_mov_b64 s[22:23], 0
	s_mov_b64 s[24:25], 0x400
	v_mov_b32_e32 v1, v0
.LBB4_2:                                ; =>This Inner Loop Header: Depth=1
	global_load_dword v6, v[4:5], off
	v_add_u32_e32 v1, 0x100, v1
	v_cmp_le_i32_e64 s[6:7], s5, v1
	v_lshl_add_u64 v[4:5], v[4:5], 0, s[24:25]
	s_or_b64 s[22:23], s[6:7], s[22:23]
	s_waitcnt vmcnt(0)
	v_fmac_f32_e32 v3, v6, v6
	s_andn2_b64 exec, exec, s[22:23]
	s_cbranch_execnz .LBB4_2
; %bb.3:
	s_or_b64 exec, exec, s[22:23]
.LBB4_4:
	s_or_b64 exec, exec, s[20:21]
	v_mbcnt_lo_u32_b32 v1, -1, 0
	v_mbcnt_hi_u32_b32 v6, -1, v1
	v_and_b32_e32 v1, 0x60, v6
	v_add_u32_e32 v7, 32, v1
	v_xor_b32_e32 v1, 16, v6
	v_cmp_lt_i32_e64 s[6:7], v1, v7
	v_xor_b32_e32 v5, 8, v6
	v_xor_b32_e32 v8, 4, v6
	v_cndmask_b32_e64 v1, v6, v1, s[6:7]
	v_lshlrev_b32_e32 v1, 2, v1
	ds_bpermute_b32 v4, v1, v3
	v_cmp_lt_i32_e64 s[6:7], v5, v7
	v_xor_b32_e32 v9, 2, v6
	v_xor_b32_e32 v10, 1, v6
	s_waitcnt lgkmcnt(0)
	v_add_f32_e32 v4, v3, v4
	v_cndmask_b32_e64 v3, v6, v5, s[6:7]
	v_lshlrev_b32_e32 v3, 2, v3
	ds_bpermute_b32 v5, v3, v4
	v_cmp_lt_i32_e64 s[6:7], v8, v7
	s_waitcnt lgkmcnt(0)
	v_add_f32_e32 v5, v4, v5
	v_cndmask_b32_e64 v4, v6, v8, s[6:7]
	v_lshlrev_b32_e32 v4, 2, v4
	ds_bpermute_b32 v8, v4, v5
	v_cmp_lt_i32_e64 s[6:7], v9, v7
	;; [unrolled: 6-line block ×3, first 2 shown]
	v_and_b32_e32 v7, 31, v0
	s_waitcnt lgkmcnt(0)
	v_add_f32_e32 v8, v8, v9
	v_cndmask_b32_e64 v6, v6, v10, s[6:7]
	v_lshlrev_b32_e32 v6, 2, v6
	ds_bpermute_b32 v9, v6, v8
	v_cmp_eq_u32_e64 s[6:7], 0, v7
	s_and_saveexec_b64 s[20:21], s[6:7]
	s_cbranch_execz .LBB4_6
; %bb.5:
	s_waitcnt lgkmcnt(0)
	v_add_f32_e32 v8, v8, v9
	v_lshrrev_b32_e32 v9, 3, v0
	v_add_u32_e32 v9, 0, v9
	ds_write_b32 v9, v8
.LBB4_6:
	s_or_b64 exec, exec, s[20:21]
	v_cmp_gt_u32_e64 s[6:7], 8, v7
	v_mov_b32_e32 v8, 0
	s_waitcnt lgkmcnt(0)
	s_barrier
	s_and_saveexec_b64 s[20:21], s[6:7]
; %bb.7:
	v_lshl_add_u32 v7, v7, 2, 0
	ds_read_b32 v8, v7
; %bb.8:
	s_or_b64 exec, exec, s[20:21]
	s_waitcnt lgkmcnt(0)
	ds_bpermute_b32 v1, v1, v8
	s_waitcnt lgkmcnt(0)
	v_add_f32_e32 v1, v8, v1
	ds_bpermute_b32 v3, v3, v1
	s_waitcnt lgkmcnt(0)
	v_add_f32_e32 v1, v1, v3
	;; [unrolled: 3-line block ×4, first 2 shown]
	ds_bpermute_b32 v3, v6, v1
	s_and_saveexec_b64 s[6:7], vcc
	s_cbranch_execz .LBB4_11
; %bb.9:
	v_cvt_f32_i32_e32 v4, s5
	s_waitcnt lgkmcnt(0)
	v_add_f32_e32 v1, v1, v3
	s_load_dword s0, s[0:1], 0x30
	v_div_scale_f32 v3, s[6:7], v4, v4, v1
	v_rcp_f32_e32 v5, v3
	v_div_scale_f32 v6, vcc, v1, v4, v1
	v_fma_f32 v7, -v3, v5, 1.0
	v_fmac_f32_e32 v5, v7, v5
	v_mul_f32_e32 v7, v6, v5
	v_fma_f32 v8, -v3, v7, v6
	v_fmac_f32_e32 v7, v8, v5
	v_fma_f32 v3, -v3, v7, v6
	v_div_fmas_f32 v3, v3, v5, v7
	v_div_fixup_f32 v1, v3, v4, v1
	s_waitcnt lgkmcnt(0)
	v_add_f32_e32 v1, s0, v1
	s_mov_b32 s0, 0x800000
	v_cmp_gt_f32_e32 vcc, s0, v1
	s_mul_i32 s0, s13, s4
	s_add_i32 s0, s0, s3
	s_mul_i32 s0, s0, s12
	s_add_i32 s0, s0, s2
	s_add_i32 s2, s34, s30
	;; [unrolled: 1-line block ×3, first 2 shown]
	s_mul_i32 s0, s0, s5
	s_add_i32 s19, s2, s35
	s_add_i32 s17, s4, s33
	s_ashr_i32 s1, s0, 31
	s_lshl_b64 s[2:3], s[18:19], 2
	s_lshl_b64 s[6:7], s[16:17], 2
	s_add_u32 s4, s2, s6
	s_addc_u32 s6, s3, s7
	s_add_i32 s2, s27, s26
	v_mul_f32_e32 v3, 0x4b800000, v1
	s_add_i32 s15, s2, s28
	v_cndmask_b32_e32 v1, v1, v3, vcc
	s_lshl_b64 s[2:3], s[14:15], 2
	v_rsq_f32_e32 v1, v1
	s_add_u32 s2, s4, s2
	s_addc_u32 s3, s6, s3
	s_add_u32 s2, s8, s2
	s_addc_u32 s3, s9, s3
	s_lshl_b64 s[0:1], s[0:1], 2
	v_mul_f32_e32 v3, 0x45800000, v1
	s_add_u32 s0, s10, s0
	v_cndmask_b32_e32 v1, v1, v3, vcc
	v_mov_b32_e32 v3, 0
	s_addc_u32 s1, s11, s1
	v_lshl_add_u64 v[4:5], s[2:3], 0, v[2:3]
	v_lshl_add_u64 v[2:3], s[0:1], 0, v[2:3]
	s_mov_b64 s[0:1], 0
	s_mov_b64 s[2:3], 0x400
.LBB4_10:                               ; =>This Inner Loop Header: Depth=1
	global_load_dword v6, v[4:5], off
	v_add_u32_e32 v0, 0x100, v0
	v_cmp_le_i32_e32 vcc, s5, v0
	v_lshl_add_u64 v[4:5], v[4:5], 0, s[2:3]
	s_or_b64 s[0:1], vcc, s[0:1]
	s_waitcnt vmcnt(0)
	v_mul_f32_e32 v6, v1, v6
	global_store_dword v[2:3], v6, off
	v_lshl_add_u64 v[2:3], v[2:3], 0, s[2:3]
	s_andn2_b64 exec, exec, s[0:1]
	s_cbranch_execnz .LBB4_10
.LBB4_11:
	s_endpgm
	.section	.rodata,"a",@progbits
	.p2align	6, 0x0
	.amdhsa_kernel _ZL12rms_norm_f32ILi256ELb0ELb0EEvPKfPfilllfS1_lll15HIP_vector_typeIjLj3EES4_S4_S4_S1_lllS4_S4_S4_S4_
		.amdhsa_group_segment_fixed_size 0
		.amdhsa_private_segment_fixed_size 0
		.amdhsa_kernarg_size 472
		.amdhsa_user_sgpr_count 2
		.amdhsa_user_sgpr_dispatch_ptr 0
		.amdhsa_user_sgpr_queue_ptr 0
		.amdhsa_user_sgpr_kernarg_segment_ptr 1
		.amdhsa_user_sgpr_dispatch_id 0
		.amdhsa_user_sgpr_kernarg_preload_length 0
		.amdhsa_user_sgpr_kernarg_preload_offset 0
		.amdhsa_user_sgpr_private_segment_size 0
		.amdhsa_uses_dynamic_stack 0
		.amdhsa_enable_private_segment 0
		.amdhsa_system_sgpr_workgroup_id_x 1
		.amdhsa_system_sgpr_workgroup_id_y 1
		.amdhsa_system_sgpr_workgroup_id_z 1
		.amdhsa_system_sgpr_workgroup_info 0
		.amdhsa_system_vgpr_workitem_id 0
		.amdhsa_next_free_vgpr 11
		.amdhsa_next_free_sgpr 36
		.amdhsa_accum_offset 12
		.amdhsa_reserve_vcc 1
		.amdhsa_float_round_mode_32 0
		.amdhsa_float_round_mode_16_64 0
		.amdhsa_float_denorm_mode_32 3
		.amdhsa_float_denorm_mode_16_64 3
		.amdhsa_dx10_clamp 1
		.amdhsa_ieee_mode 1
		.amdhsa_fp16_overflow 0
		.amdhsa_tg_split 0
		.amdhsa_exception_fp_ieee_invalid_op 0
		.amdhsa_exception_fp_denorm_src 0
		.amdhsa_exception_fp_ieee_div_zero 0
		.amdhsa_exception_fp_ieee_overflow 0
		.amdhsa_exception_fp_ieee_underflow 0
		.amdhsa_exception_fp_ieee_inexact 0
		.amdhsa_exception_int_div_zero 0
	.end_amdhsa_kernel
	.section	.text._ZL12rms_norm_f32ILi256ELb0ELb0EEvPKfPfilllfS1_lll15HIP_vector_typeIjLj3EES4_S4_S4_S1_lllS4_S4_S4_S4_,"axG",@progbits,_ZL12rms_norm_f32ILi256ELb0ELb0EEvPKfPfilllfS1_lll15HIP_vector_typeIjLj3EES4_S4_S4_S1_lllS4_S4_S4_S4_,comdat
.Lfunc_end4:
	.size	_ZL12rms_norm_f32ILi256ELb0ELb0EEvPKfPfilllfS1_lll15HIP_vector_typeIjLj3EES4_S4_S4_S1_lllS4_S4_S4_S4_, .Lfunc_end4-_ZL12rms_norm_f32ILi256ELb0ELb0EEvPKfPfilllfS1_lll15HIP_vector_typeIjLj3EES4_S4_S4_S1_lllS4_S4_S4_S4_
                                        ; -- End function
	.set _ZL12rms_norm_f32ILi256ELb0ELb0EEvPKfPfilllfS1_lll15HIP_vector_typeIjLj3EES4_S4_S4_S1_lllS4_S4_S4_S4_.num_vgpr, 11
	.set _ZL12rms_norm_f32ILi256ELb0ELb0EEvPKfPfilllfS1_lll15HIP_vector_typeIjLj3EES4_S4_S4_S1_lllS4_S4_S4_S4_.num_agpr, 0
	.set _ZL12rms_norm_f32ILi256ELb0ELb0EEvPKfPfilllfS1_lll15HIP_vector_typeIjLj3EES4_S4_S4_S1_lllS4_S4_S4_S4_.numbered_sgpr, 36
	.set _ZL12rms_norm_f32ILi256ELb0ELb0EEvPKfPfilllfS1_lll15HIP_vector_typeIjLj3EES4_S4_S4_S1_lllS4_S4_S4_S4_.num_named_barrier, 0
	.set _ZL12rms_norm_f32ILi256ELb0ELb0EEvPKfPfilllfS1_lll15HIP_vector_typeIjLj3EES4_S4_S4_S1_lllS4_S4_S4_S4_.private_seg_size, 0
	.set _ZL12rms_norm_f32ILi256ELb0ELb0EEvPKfPfilllfS1_lll15HIP_vector_typeIjLj3EES4_S4_S4_S1_lllS4_S4_S4_S4_.uses_vcc, 1
	.set _ZL12rms_norm_f32ILi256ELb0ELb0EEvPKfPfilllfS1_lll15HIP_vector_typeIjLj3EES4_S4_S4_S1_lllS4_S4_S4_S4_.uses_flat_scratch, 0
	.set _ZL12rms_norm_f32ILi256ELb0ELb0EEvPKfPfilllfS1_lll15HIP_vector_typeIjLj3EES4_S4_S4_S1_lllS4_S4_S4_S4_.has_dyn_sized_stack, 0
	.set _ZL12rms_norm_f32ILi256ELb0ELb0EEvPKfPfilllfS1_lll15HIP_vector_typeIjLj3EES4_S4_S4_S1_lllS4_S4_S4_S4_.has_recursion, 0
	.set _ZL12rms_norm_f32ILi256ELb0ELb0EEvPKfPfilllfS1_lll15HIP_vector_typeIjLj3EES4_S4_S4_S1_lllS4_S4_S4_S4_.has_indirect_call, 0
	.section	.AMDGPU.csdata,"",@progbits
; Kernel info:
; codeLenInByte = 1004
; TotalNumSgprs: 42
; NumVgprs: 11
; NumAgprs: 0
; TotalNumVgprs: 11
; ScratchSize: 0
; MemoryBound: 0
; FloatMode: 240
; IeeeMode: 1
; LDSByteSize: 0 bytes/workgroup (compile time only)
; SGPRBlocks: 5
; VGPRBlocks: 1
; NumSGPRsForWavesPerEU: 42
; NumVGPRsForWavesPerEU: 11
; AccumOffset: 12
; Occupancy: 8
; WaveLimiterHint : 0
; COMPUTE_PGM_RSRC2:SCRATCH_EN: 0
; COMPUTE_PGM_RSRC2:USER_SGPR: 2
; COMPUTE_PGM_RSRC2:TRAP_HANDLER: 0
; COMPUTE_PGM_RSRC2:TGID_X_EN: 1
; COMPUTE_PGM_RSRC2:TGID_Y_EN: 1
; COMPUTE_PGM_RSRC2:TGID_Z_EN: 1
; COMPUTE_PGM_RSRC2:TIDIG_COMP_CNT: 0
; COMPUTE_PGM_RSRC3_GFX90A:ACCUM_OFFSET: 2
; COMPUTE_PGM_RSRC3_GFX90A:TG_SPLIT: 0
	.section	.text._ZL12rms_norm_f32ILi1024ELb0ELb0EEvPKfPfilllfS1_lll15HIP_vector_typeIjLj3EES4_S4_S4_S1_lllS4_S4_S4_S4_,"axG",@progbits,_ZL12rms_norm_f32ILi1024ELb0ELb0EEvPKfPfilllfS1_lll15HIP_vector_typeIjLj3EES4_S4_S4_S1_lllS4_S4_S4_S4_,comdat
	.globl	_ZL12rms_norm_f32ILi1024ELb0ELb0EEvPKfPfilllfS1_lll15HIP_vector_typeIjLj3EES4_S4_S4_S1_lllS4_S4_S4_S4_ ; -- Begin function _ZL12rms_norm_f32ILi1024ELb0ELb0EEvPKfPfilllfS1_lll15HIP_vector_typeIjLj3EES4_S4_S4_S1_lllS4_S4_S4_S4_
	.p2align	8
	.type	_ZL12rms_norm_f32ILi1024ELb0ELb0EEvPKfPfilllfS1_lll15HIP_vector_typeIjLj3EES4_S4_S4_S1_lllS4_S4_S4_S4_,@function
_ZL12rms_norm_f32ILi1024ELb0ELb0EEvPKfPfilllfS1_lll15HIP_vector_typeIjLj3EES4_S4_S4_S1_lllS4_S4_S4_S4_: ; @_ZL12rms_norm_f32ILi1024ELb0ELb0EEvPKfPfilllfS1_lll15HIP_vector_typeIjLj3EES4_S4_S4_S1_lllS4_S4_S4_S4_
; %bb.0:
	s_load_dwordx4 s[8:11], s[0:1], 0x0
	s_load_dword s5, s[0:1], 0x10
	s_load_dwordx4 s[20:23], s[0:1], 0x18
	s_load_dwordx2 s[6:7], s[0:1], 0x28
	s_load_dwordx2 s[12:13], s[0:1], 0xd8
	s_ashr_i32 s14, s4, 31
	s_ashr_i32 s15, s3, 31
	;; [unrolled: 1-line block ×3, first 2 shown]
	s_waitcnt lgkmcnt(0)
	v_cmp_gt_i32_e32 vcc, s5, v0
	v_mov_b32_e32 v3, 0
	s_mul_i32 s30, s6, s14
	s_mul_hi_u32 s34, s6, s4
	s_mul_i32 s35, s7, s4
	s_mul_i32 s18, s6, s4
	s_mul_i32 s29, s22, s15
	s_mul_hi_u32 s31, s22, s3
	s_mul_i32 s33, s23, s3
	s_mul_i32 s16, s22, s3
	;; [unrolled: 4-line block ×3, first 2 shown]
	v_lshlrev_b32_e32 v2, 2, v0
	s_and_saveexec_b64 s[20:21], vcc
	s_cbranch_execz .LBB5_4
; %bb.1:
	s_add_i32 s6, s34, s30
	s_add_i32 s15, s31, s29
	;; [unrolled: 1-line block ×4, first 2 shown]
	s_lshl_b64 s[6:7], s[18:19], 2
	s_lshl_b64 s[22:23], s[16:17], 2
	s_add_u32 s17, s6, s22
	s_addc_u32 s19, s7, s23
	s_add_i32 s6, s27, s26
	s_add_i32 s15, s6, s28
	s_lshl_b64 s[6:7], s[14:15], 2
	s_add_u32 s6, s17, s6
	s_addc_u32 s7, s19, s7
	s_add_u32 s6, s8, s6
	v_mov_b32_e32 v3, 0
	s_addc_u32 s7, s9, s7
	v_lshl_add_u64 v[4:5], s[6:7], 0, v[2:3]
	s_mov_b64 s[22:23], 0
	s_mov_b64 s[24:25], 0x1000
	v_mov_b32_e32 v1, v0
.LBB5_2:                                ; =>This Inner Loop Header: Depth=1
	global_load_dword v6, v[4:5], off
	v_add_u32_e32 v1, 0x400, v1
	v_cmp_le_i32_e64 s[6:7], s5, v1
	v_lshl_add_u64 v[4:5], v[4:5], 0, s[24:25]
	s_or_b64 s[22:23], s[6:7], s[22:23]
	s_waitcnt vmcnt(0)
	v_fmac_f32_e32 v3, v6, v6
	s_andn2_b64 exec, exec, s[22:23]
	s_cbranch_execnz .LBB5_2
; %bb.3:
	s_or_b64 exec, exec, s[22:23]
.LBB5_4:
	s_or_b64 exec, exec, s[20:21]
	v_mbcnt_lo_u32_b32 v1, -1, 0
	v_mbcnt_hi_u32_b32 v6, -1, v1
	v_and_b32_e32 v1, 0x60, v6
	v_add_u32_e32 v7, 32, v1
	v_xor_b32_e32 v1, 16, v6
	v_cmp_lt_i32_e64 s[6:7], v1, v7
	v_xor_b32_e32 v5, 8, v6
	v_xor_b32_e32 v8, 4, v6
	v_cndmask_b32_e64 v1, v6, v1, s[6:7]
	v_lshlrev_b32_e32 v1, 2, v1
	ds_bpermute_b32 v4, v1, v3
	v_cmp_lt_i32_e64 s[6:7], v5, v7
	v_xor_b32_e32 v9, 2, v6
	v_xor_b32_e32 v10, 1, v6
	s_waitcnt lgkmcnt(0)
	v_add_f32_e32 v4, v3, v4
	v_cndmask_b32_e64 v3, v6, v5, s[6:7]
	v_lshlrev_b32_e32 v3, 2, v3
	ds_bpermute_b32 v5, v3, v4
	v_cmp_lt_i32_e64 s[6:7], v8, v7
	s_waitcnt lgkmcnt(0)
	v_add_f32_e32 v5, v4, v5
	v_cndmask_b32_e64 v4, v6, v8, s[6:7]
	v_lshlrev_b32_e32 v4, 2, v4
	ds_bpermute_b32 v8, v4, v5
	v_cmp_lt_i32_e64 s[6:7], v9, v7
	;; [unrolled: 6-line block ×3, first 2 shown]
	v_and_b32_e32 v7, 31, v0
	s_waitcnt lgkmcnt(0)
	v_add_f32_e32 v8, v8, v9
	v_cndmask_b32_e64 v6, v6, v10, s[6:7]
	v_lshlrev_b32_e32 v6, 2, v6
	ds_bpermute_b32 v9, v6, v8
	v_cmp_eq_u32_e64 s[6:7], 0, v7
	s_and_saveexec_b64 s[20:21], s[6:7]
	s_cbranch_execz .LBB5_6
; %bb.5:
	s_waitcnt lgkmcnt(0)
	v_add_f32_e32 v8, v8, v9
	v_lshrrev_b32_e32 v9, 3, v0
	v_add_u32_e32 v9, 0, v9
	ds_write_b32 v9, v8
.LBB5_6:
	s_or_b64 exec, exec, s[20:21]
	v_lshl_add_u32 v7, v7, 2, 0
	s_waitcnt lgkmcnt(0)
	s_barrier
	ds_read_b32 v7, v7
	s_waitcnt lgkmcnt(0)
	ds_bpermute_b32 v1, v1, v7
	s_waitcnt lgkmcnt(0)
	v_add_f32_e32 v1, v7, v1
	ds_bpermute_b32 v3, v3, v1
	s_waitcnt lgkmcnt(0)
	v_add_f32_e32 v1, v1, v3
	ds_bpermute_b32 v3, v4, v1
	s_waitcnt lgkmcnt(0)
	v_add_f32_e32 v1, v1, v3
	ds_bpermute_b32 v3, v5, v1
	s_waitcnt lgkmcnt(0)
	v_add_f32_e32 v1, v1, v3
	ds_bpermute_b32 v3, v6, v1
	s_and_saveexec_b64 s[6:7], vcc
	s_cbranch_execz .LBB5_9
; %bb.7:
	v_cvt_f32_i32_e32 v4, s5
	s_waitcnt lgkmcnt(0)
	v_add_f32_e32 v1, v1, v3
	s_load_dword s0, s[0:1], 0x30
	v_div_scale_f32 v3, s[6:7], v4, v4, v1
	v_rcp_f32_e32 v5, v3
	v_div_scale_f32 v6, vcc, v1, v4, v1
	v_fma_f32 v7, -v3, v5, 1.0
	v_fmac_f32_e32 v5, v7, v5
	v_mul_f32_e32 v7, v6, v5
	v_fma_f32 v8, -v3, v7, v6
	v_fmac_f32_e32 v7, v8, v5
	v_fma_f32 v3, -v3, v7, v6
	v_div_fmas_f32 v3, v3, v5, v7
	v_div_fixup_f32 v1, v3, v4, v1
	s_waitcnt lgkmcnt(0)
	v_add_f32_e32 v1, s0, v1
	s_mov_b32 s0, 0x800000
	v_cmp_gt_f32_e32 vcc, s0, v1
	s_mul_i32 s0, s13, s4
	s_add_i32 s0, s0, s3
	s_mul_i32 s0, s0, s12
	s_add_i32 s0, s0, s2
	s_add_i32 s2, s34, s30
	;; [unrolled: 1-line block ×3, first 2 shown]
	s_mul_i32 s0, s0, s5
	s_add_i32 s19, s2, s35
	s_add_i32 s17, s4, s33
	s_ashr_i32 s1, s0, 31
	s_lshl_b64 s[2:3], s[18:19], 2
	s_lshl_b64 s[6:7], s[16:17], 2
	s_add_u32 s4, s2, s6
	s_addc_u32 s6, s3, s7
	s_add_i32 s2, s27, s26
	v_mul_f32_e32 v3, 0x4b800000, v1
	s_add_i32 s15, s2, s28
	v_cndmask_b32_e32 v1, v1, v3, vcc
	s_lshl_b64 s[2:3], s[14:15], 2
	v_rsq_f32_e32 v1, v1
	s_add_u32 s2, s4, s2
	s_addc_u32 s3, s6, s3
	s_add_u32 s2, s8, s2
	s_addc_u32 s3, s9, s3
	s_lshl_b64 s[0:1], s[0:1], 2
	v_mul_f32_e32 v3, 0x45800000, v1
	s_add_u32 s0, s10, s0
	v_cndmask_b32_e32 v1, v1, v3, vcc
	v_mov_b32_e32 v3, 0
	s_addc_u32 s1, s11, s1
	v_lshl_add_u64 v[4:5], s[2:3], 0, v[2:3]
	v_lshl_add_u64 v[2:3], s[0:1], 0, v[2:3]
	s_mov_b64 s[0:1], 0
	s_mov_b64 s[2:3], 0x1000
.LBB5_8:                                ; =>This Inner Loop Header: Depth=1
	global_load_dword v6, v[4:5], off
	v_add_u32_e32 v0, 0x400, v0
	v_cmp_le_i32_e32 vcc, s5, v0
	v_lshl_add_u64 v[4:5], v[4:5], 0, s[2:3]
	s_or_b64 s[0:1], vcc, s[0:1]
	s_waitcnt vmcnt(0)
	v_mul_f32_e32 v6, v1, v6
	global_store_dword v[2:3], v6, off
	v_lshl_add_u64 v[2:3], v[2:3], 0, s[2:3]
	s_andn2_b64 exec, exec, s[0:1]
	s_cbranch_execnz .LBB5_8
.LBB5_9:
	s_endpgm
	.section	.rodata,"a",@progbits
	.p2align	6, 0x0
	.amdhsa_kernel _ZL12rms_norm_f32ILi1024ELb0ELb0EEvPKfPfilllfS1_lll15HIP_vector_typeIjLj3EES4_S4_S4_S1_lllS4_S4_S4_S4_
		.amdhsa_group_segment_fixed_size 0
		.amdhsa_private_segment_fixed_size 0
		.amdhsa_kernarg_size 472
		.amdhsa_user_sgpr_count 2
		.amdhsa_user_sgpr_dispatch_ptr 0
		.amdhsa_user_sgpr_queue_ptr 0
		.amdhsa_user_sgpr_kernarg_segment_ptr 1
		.amdhsa_user_sgpr_dispatch_id 0
		.amdhsa_user_sgpr_kernarg_preload_length 0
		.amdhsa_user_sgpr_kernarg_preload_offset 0
		.amdhsa_user_sgpr_private_segment_size 0
		.amdhsa_uses_dynamic_stack 0
		.amdhsa_enable_private_segment 0
		.amdhsa_system_sgpr_workgroup_id_x 1
		.amdhsa_system_sgpr_workgroup_id_y 1
		.amdhsa_system_sgpr_workgroup_id_z 1
		.amdhsa_system_sgpr_workgroup_info 0
		.amdhsa_system_vgpr_workitem_id 0
		.amdhsa_next_free_vgpr 11
		.amdhsa_next_free_sgpr 36
		.amdhsa_accum_offset 12
		.amdhsa_reserve_vcc 1
		.amdhsa_float_round_mode_32 0
		.amdhsa_float_round_mode_16_64 0
		.amdhsa_float_denorm_mode_32 3
		.amdhsa_float_denorm_mode_16_64 3
		.amdhsa_dx10_clamp 1
		.amdhsa_ieee_mode 1
		.amdhsa_fp16_overflow 0
		.amdhsa_tg_split 0
		.amdhsa_exception_fp_ieee_invalid_op 0
		.amdhsa_exception_fp_denorm_src 0
		.amdhsa_exception_fp_ieee_div_zero 0
		.amdhsa_exception_fp_ieee_overflow 0
		.amdhsa_exception_fp_ieee_underflow 0
		.amdhsa_exception_fp_ieee_inexact 0
		.amdhsa_exception_int_div_zero 0
	.end_amdhsa_kernel
	.section	.text._ZL12rms_norm_f32ILi1024ELb0ELb0EEvPKfPfilllfS1_lll15HIP_vector_typeIjLj3EES4_S4_S4_S1_lllS4_S4_S4_S4_,"axG",@progbits,_ZL12rms_norm_f32ILi1024ELb0ELb0EEvPKfPfilllfS1_lll15HIP_vector_typeIjLj3EES4_S4_S4_S1_lllS4_S4_S4_S4_,comdat
.Lfunc_end5:
	.size	_ZL12rms_norm_f32ILi1024ELb0ELb0EEvPKfPfilllfS1_lll15HIP_vector_typeIjLj3EES4_S4_S4_S1_lllS4_S4_S4_S4_, .Lfunc_end5-_ZL12rms_norm_f32ILi1024ELb0ELb0EEvPKfPfilllfS1_lll15HIP_vector_typeIjLj3EES4_S4_S4_S1_lllS4_S4_S4_S4_
                                        ; -- End function
	.set _ZL12rms_norm_f32ILi1024ELb0ELb0EEvPKfPfilllfS1_lll15HIP_vector_typeIjLj3EES4_S4_S4_S1_lllS4_S4_S4_S4_.num_vgpr, 11
	.set _ZL12rms_norm_f32ILi1024ELb0ELb0EEvPKfPfilllfS1_lll15HIP_vector_typeIjLj3EES4_S4_S4_S1_lllS4_S4_S4_S4_.num_agpr, 0
	.set _ZL12rms_norm_f32ILi1024ELb0ELb0EEvPKfPfilllfS1_lll15HIP_vector_typeIjLj3EES4_S4_S4_S1_lllS4_S4_S4_S4_.numbered_sgpr, 36
	.set _ZL12rms_norm_f32ILi1024ELb0ELb0EEvPKfPfilllfS1_lll15HIP_vector_typeIjLj3EES4_S4_S4_S1_lllS4_S4_S4_S4_.num_named_barrier, 0
	.set _ZL12rms_norm_f32ILi1024ELb0ELb0EEvPKfPfilllfS1_lll15HIP_vector_typeIjLj3EES4_S4_S4_S1_lllS4_S4_S4_S4_.private_seg_size, 0
	.set _ZL12rms_norm_f32ILi1024ELb0ELb0EEvPKfPfilllfS1_lll15HIP_vector_typeIjLj3EES4_S4_S4_S1_lllS4_S4_S4_S4_.uses_vcc, 1
	.set _ZL12rms_norm_f32ILi1024ELb0ELb0EEvPKfPfilllfS1_lll15HIP_vector_typeIjLj3EES4_S4_S4_S1_lllS4_S4_S4_S4_.uses_flat_scratch, 0
	.set _ZL12rms_norm_f32ILi1024ELb0ELb0EEvPKfPfilllfS1_lll15HIP_vector_typeIjLj3EES4_S4_S4_S1_lllS4_S4_S4_S4_.has_dyn_sized_stack, 0
	.set _ZL12rms_norm_f32ILi1024ELb0ELb0EEvPKfPfilllfS1_lll15HIP_vector_typeIjLj3EES4_S4_S4_S1_lllS4_S4_S4_S4_.has_recursion, 0
	.set _ZL12rms_norm_f32ILi1024ELb0ELb0EEvPKfPfilllfS1_lll15HIP_vector_typeIjLj3EES4_S4_S4_S1_lllS4_S4_S4_S4_.has_indirect_call, 0
	.section	.AMDGPU.csdata,"",@progbits
; Kernel info:
; codeLenInByte = 984
; TotalNumSgprs: 42
; NumVgprs: 11
; NumAgprs: 0
; TotalNumVgprs: 11
; ScratchSize: 0
; MemoryBound: 0
; FloatMode: 240
; IeeeMode: 1
; LDSByteSize: 0 bytes/workgroup (compile time only)
; SGPRBlocks: 5
; VGPRBlocks: 1
; NumSGPRsForWavesPerEU: 42
; NumVGPRsForWavesPerEU: 11
; AccumOffset: 12
; Occupancy: 8
; WaveLimiterHint : 0
; COMPUTE_PGM_RSRC2:SCRATCH_EN: 0
; COMPUTE_PGM_RSRC2:USER_SGPR: 2
; COMPUTE_PGM_RSRC2:TRAP_HANDLER: 0
; COMPUTE_PGM_RSRC2:TGID_X_EN: 1
; COMPUTE_PGM_RSRC2:TGID_Y_EN: 1
; COMPUTE_PGM_RSRC2:TGID_Z_EN: 1
; COMPUTE_PGM_RSRC2:TIDIG_COMP_CNT: 0
; COMPUTE_PGM_RSRC3_GFX90A:ACCUM_OFFSET: 2
; COMPUTE_PGM_RSRC3_GFX90A:TG_SPLIT: 0
	.section	.text._ZL12rms_norm_f32ILi256ELb1ELb0EEvPKfPfilllfS1_lll15HIP_vector_typeIjLj3EES4_S4_S4_S1_lllS4_S4_S4_S4_,"axG",@progbits,_ZL12rms_norm_f32ILi256ELb1ELb0EEvPKfPfilllfS1_lll15HIP_vector_typeIjLj3EES4_S4_S4_S1_lllS4_S4_S4_S4_,comdat
	.globl	_ZL12rms_norm_f32ILi256ELb1ELb0EEvPKfPfilllfS1_lll15HIP_vector_typeIjLj3EES4_S4_S4_S1_lllS4_S4_S4_S4_ ; -- Begin function _ZL12rms_norm_f32ILi256ELb1ELb0EEvPKfPfilllfS1_lll15HIP_vector_typeIjLj3EES4_S4_S4_S1_lllS4_S4_S4_S4_
	.p2align	8
	.type	_ZL12rms_norm_f32ILi256ELb1ELb0EEvPKfPfilllfS1_lll15HIP_vector_typeIjLj3EES4_S4_S4_S1_lllS4_S4_S4_S4_,@function
_ZL12rms_norm_f32ILi256ELb1ELb0EEvPKfPfilllfS1_lll15HIP_vector_typeIjLj3EES4_S4_S4_S1_lllS4_S4_S4_S4_: ; @_ZL12rms_norm_f32ILi256ELb1ELb0EEvPKfPfilllfS1_lll15HIP_vector_typeIjLj3EES4_S4_S4_S1_lllS4_S4_S4_S4_
; %bb.0:
	s_load_dwordx4 s[24:27], s[0:1], 0x0
	s_load_dword s33, s[0:1], 0x10
	s_load_dwordx4 s[16:19], s[0:1], 0x18
	s_load_dwordx2 s[6:7], s[0:1], 0x28
	s_load_dwordx8 s[8:15], s[0:1], 0x58
	s_load_dwordx4 s[28:31], s[0:1], 0x78
	s_load_dwordx2 s[40:41], s[0:1], 0xd8
	s_ashr_i32 s5, s4, 31
	s_ashr_i32 s20, s3, 31
	;; [unrolled: 1-line block ×3, first 2 shown]
	s_waitcnt lgkmcnt(0)
	v_cmp_gt_i32_e32 vcc, s33, v0
	v_mov_b32_e32 v3, 0
	s_mul_i32 s45, s6, s5
	s_mul_hi_u32 s48, s6, s4
	s_mul_i32 s49, s7, s4
	s_mul_i32 s38, s6, s4
	s_mul_i32 s44, s18, s20
	s_mul_hi_u32 s46, s18, s3
	s_mul_i32 s47, s19, s3
	s_mul_i32 s36, s18, s3
	;; [unrolled: 4-line block ×3, first 2 shown]
	v_lshlrev_b32_e32 v2, 2, v0
	s_and_saveexec_b64 s[16:17], vcc
	s_cbranch_execz .LBB6_4
; %bb.1:
	s_add_i32 s6, s48, s45
	s_add_i32 s18, s46, s44
	;; [unrolled: 1-line block ×4, first 2 shown]
	s_lshl_b64 s[6:7], s[38:39], 2
	s_lshl_b64 s[18:19], s[36:37], 2
	s_add_u32 s18, s6, s18
	s_addc_u32 s19, s7, s19
	s_add_i32 s6, s42, s5
	s_add_i32 s35, s6, s43
	s_lshl_b64 s[6:7], s[34:35], 2
	s_add_u32 s6, s18, s6
	s_addc_u32 s7, s19, s7
	s_add_u32 s6, s24, s6
	v_mov_b32_e32 v3, 0
	s_addc_u32 s7, s25, s7
	v_lshl_add_u64 v[4:5], s[6:7], 0, v[2:3]
	s_mov_b64 s[18:19], 0
	s_mov_b64 s[20:21], 0x400
	v_mov_b32_e32 v1, v0
.LBB6_2:                                ; =>This Inner Loop Header: Depth=1
	global_load_dword v6, v[4:5], off
	v_add_u32_e32 v1, 0x100, v1
	v_cmp_le_i32_e64 s[6:7], s33, v1
	v_lshl_add_u64 v[4:5], v[4:5], 0, s[20:21]
	s_or_b64 s[18:19], s[6:7], s[18:19]
	s_waitcnt vmcnt(0)
	v_fmac_f32_e32 v3, v6, v6
	s_andn2_b64 exec, exec, s[18:19]
	s_cbranch_execnz .LBB6_2
; %bb.3:
	s_or_b64 exec, exec, s[18:19]
.LBB6_4:
	s_or_b64 exec, exec, s[16:17]
	v_mbcnt_lo_u32_b32 v1, -1, 0
	v_mbcnt_hi_u32_b32 v6, -1, v1
	v_and_b32_e32 v1, 0x60, v6
	v_add_u32_e32 v7, 32, v1
	v_xor_b32_e32 v1, 16, v6
	v_cmp_lt_i32_e64 s[6:7], v1, v7
	v_xor_b32_e32 v5, 8, v6
	v_xor_b32_e32 v8, 4, v6
	v_cndmask_b32_e64 v1, v6, v1, s[6:7]
	v_lshlrev_b32_e32 v1, 2, v1
	ds_bpermute_b32 v4, v1, v3
	v_cmp_lt_i32_e64 s[6:7], v5, v7
	v_xor_b32_e32 v9, 2, v6
	v_xor_b32_e32 v10, 1, v6
	s_waitcnt lgkmcnt(0)
	v_add_f32_e32 v4, v3, v4
	v_cndmask_b32_e64 v3, v6, v5, s[6:7]
	v_lshlrev_b32_e32 v3, 2, v3
	ds_bpermute_b32 v5, v3, v4
	v_cmp_lt_i32_e64 s[6:7], v8, v7
	s_waitcnt lgkmcnt(0)
	v_add_f32_e32 v5, v4, v5
	v_cndmask_b32_e64 v4, v6, v8, s[6:7]
	v_lshlrev_b32_e32 v4, 2, v4
	ds_bpermute_b32 v8, v4, v5
	v_cmp_lt_i32_e64 s[6:7], v9, v7
	;; [unrolled: 6-line block ×3, first 2 shown]
	v_and_b32_e32 v7, 31, v0
	s_waitcnt lgkmcnt(0)
	v_add_f32_e32 v8, v8, v9
	v_cndmask_b32_e64 v6, v6, v10, s[6:7]
	v_lshlrev_b32_e32 v6, 2, v6
	ds_bpermute_b32 v9, v6, v8
	v_cmp_eq_u32_e64 s[6:7], 0, v7
	s_and_saveexec_b64 s[16:17], s[6:7]
	s_cbranch_execz .LBB6_6
; %bb.5:
	s_waitcnt lgkmcnt(0)
	v_add_f32_e32 v8, v8, v9
	v_lshrrev_b32_e32 v9, 3, v0
	v_add_u32_e32 v9, 0, v9
	ds_write_b32 v9, v8
.LBB6_6:
	s_or_b64 exec, exec, s[16:17]
	v_cmp_gt_u32_e64 s[6:7], 8, v7
	v_mov_b32_e32 v8, 0
	s_waitcnt lgkmcnt(0)
	s_barrier
	s_and_saveexec_b64 s[16:17], s[6:7]
; %bb.7:
	v_lshl_add_u32 v7, v7, 2, 0
	ds_read_b32 v8, v7
; %bb.8:
	s_or_b64 exec, exec, s[16:17]
	s_waitcnt lgkmcnt(0)
	ds_bpermute_b32 v1, v1, v8
	s_waitcnt lgkmcnt(0)
	v_add_f32_e32 v1, v8, v1
	ds_bpermute_b32 v3, v3, v1
	s_waitcnt lgkmcnt(0)
	v_add_f32_e32 v1, v1, v3
	;; [unrolled: 3-line block ×4, first 2 shown]
	ds_bpermute_b32 v3, v6, v1
	s_and_saveexec_b64 s[6:7], vcc
	s_cbranch_execz .LBB6_11
; %bb.9:
	v_cvt_f32_i32_e32 v4, s33
	s_waitcnt lgkmcnt(0)
	v_add_f32_e32 v1, v1, v3
	s_load_dwordx8 s[16:23], s[0:1], 0x38
	v_div_scale_f32 v3, s[6:7], v4, v4, v1
	v_rcp_f32_e32 v5, v3
	v_div_scale_f32 v6, vcc, v1, v4, v1
	s_load_dword s6, s[0:1], 0x30
	v_fma_f32 v7, -v3, v5, 1.0
	v_fmac_f32_e32 v5, v7, v5
	v_mul_f32_e32 v7, v6, v5
	v_fma_f32 v8, -v3, v7, v6
	v_fmac_f32_e32 v7, v8, v5
	v_fma_f32 v3, -v3, v7, v6
	s_mul_i32 s0, s41, s4
	v_div_fmas_f32 v3, v3, v5, v7
	s_add_i32 s0, s0, s3
	v_div_fixup_f32 v1, v3, v4, v1
	s_mul_i32 s0, s0, s40
	s_waitcnt lgkmcnt(0)
	v_add_f32_e32 v1, s6, v1
	s_mov_b32 s6, 0x800000
	s_add_i32 s0, s0, s2
	v_cmp_gt_f32_e32 vcc, s6, v1
	s_mul_i32 s6, s0, s33
	s_mul_hi_u32 s0, s11, s2
	s_add_i32 s0, s2, s0
	s_lshr_b32 s0, s0, s12
	s_mul_i32 s0, s0, s13
	s_sub_i32 s11, s2, s0
	s_mul_hi_u32 s0, s14, s3
	s_add_i32 s0, s3, s0
	s_lshr_b32 s0, s0, s15
	s_mul_i32 s0, s0, s28
	s_sub_i32 s2, s3, s0
	s_mul_hi_u32 s0, s29, s4
	s_add_i32 s0, s4, s0
	s_lshr_b32 s0, s0, s30
	s_mul_i32 s0, s0, s31
	s_sub_i32 s0, s4, s0
	s_mul_i32 s1, s23, s0
	s_mul_hi_u32 s3, s22, s0
	s_add_i32 s1, s3, s1
	s_mul_i32 s3, s21, s2
	s_mul_hi_u32 s4, s20, s2
	s_mul_i32 s0, s22, s0
	s_add_i32 s3, s4, s3
	s_mul_i32 s4, s19, s11
	s_mul_hi_u32 s12, s18, s11
	s_ashr_i32 s7, s6, 31
	s_add_i32 s13, s12, s4
	s_lshl_b64 s[0:1], s[0:1], 2
	s_mul_i32 s2, s20, s2
	s_add_u32 s4, s16, s0
	s_mul_i32 s12, s18, s11
	s_addc_u32 s11, s17, s1
	s_lshl_b64 s[0:1], s[2:3], 2
	v_mul_f32_e32 v3, 0x4b800000, v1
	s_add_u32 s2, s4, s0
	v_cndmask_b32_e32 v1, v1, v3, vcc
	s_addc_u32 s3, s11, s1
	s_lshl_b64 s[0:1], s[12:13], 2
	v_rsq_f32_e32 v1, v1
	s_add_u32 s0, s2, s0
	s_addc_u32 s1, s3, s1
	s_lshl_b64 s[6:7], s[6:7], 2
	s_add_u32 s6, s26, s6
	s_addc_u32 s7, s27, s7
	s_add_i32 s4, s48, s45
	v_mul_f32_e32 v3, 0x45800000, v1
	s_add_i32 s39, s4, s49
	s_add_i32 s4, s46, s44
	v_cndmask_b32_e32 v1, v1, v3, vcc
	v_mov_b32_e32 v3, 0
	s_add_i32 s37, s4, s47
	v_lshl_add_u64 v[4:5], s[6:7], 0, v[2:3]
	s_lshl_b64 s[6:7], s[38:39], 2
	s_lshl_b64 s[12:13], s[36:37], 2
	s_add_u32 s6, s6, s12
	s_addc_u32 s7, s7, s13
	s_add_i32 s4, s42, s5
	s_add_i32 s35, s4, s43
	s_lshl_b64 s[4:5], s[34:35], 2
	s_add_u32 s4, s6, s4
	s_addc_u32 s5, s7, s5
	s_add_u32 s4, s24, s4
	s_addc_u32 s5, s25, s5
	s_mov_b32 s3, 0
	s_mov_b32 s2, s8
	v_lshl_add_u64 v[2:3], s[4:5], 0, v[2:3]
	v_mad_u64_u32 v[6:7], s[4:5], v0, s8, 0
	s_lshl_b64 s[2:3], s[2:3], 8
	s_sub_i32 s8, 0, s10
	s_mov_b64 s[4:5], 0
	s_mov_b64 s[6:7], 0x400
.LBB6_10:                               ; =>This Inner Loop Header: Depth=1
	v_add_u32_e32 v8, v0, v7
	v_lshrrev_b32_e32 v8, s9, v8
	v_mad_u64_u32 v[8:9], s[10:11], s8, v8, v[0:1]
	v_ashrrev_i32_e32 v9, 31, v8
	global_load_dword v10, v[2:3], off
	v_lshl_add_u64 v[8:9], v[8:9], 2, s[0:1]
	global_load_dword v8, v[8:9], off
	v_add_u32_e32 v0, 0x100, v0
	v_cmp_le_i32_e32 vcc, s33, v0
	v_lshl_add_u64 v[2:3], v[2:3], 0, s[6:7]
	v_lshl_add_u64 v[6:7], v[6:7], 0, s[2:3]
	s_or_b64 s[4:5], vcc, s[4:5]
	s_waitcnt vmcnt(1)
	v_mul_f32_e32 v9, v1, v10
	s_waitcnt vmcnt(0)
	v_mul_f32_e32 v8, v9, v8
	global_store_dword v[4:5], v8, off
	v_lshl_add_u64 v[4:5], v[4:5], 0, s[6:7]
	s_andn2_b64 exec, exec, s[4:5]
	s_cbranch_execnz .LBB6_10
.LBB6_11:
	s_endpgm
	.section	.rodata,"a",@progbits
	.p2align	6, 0x0
	.amdhsa_kernel _ZL12rms_norm_f32ILi256ELb1ELb0EEvPKfPfilllfS1_lll15HIP_vector_typeIjLj3EES4_S4_S4_S1_lllS4_S4_S4_S4_
		.amdhsa_group_segment_fixed_size 0
		.amdhsa_private_segment_fixed_size 0
		.amdhsa_kernarg_size 472
		.amdhsa_user_sgpr_count 2
		.amdhsa_user_sgpr_dispatch_ptr 0
		.amdhsa_user_sgpr_queue_ptr 0
		.amdhsa_user_sgpr_kernarg_segment_ptr 1
		.amdhsa_user_sgpr_dispatch_id 0
		.amdhsa_user_sgpr_kernarg_preload_length 0
		.amdhsa_user_sgpr_kernarg_preload_offset 0
		.amdhsa_user_sgpr_private_segment_size 0
		.amdhsa_uses_dynamic_stack 0
		.amdhsa_enable_private_segment 0
		.amdhsa_system_sgpr_workgroup_id_x 1
		.amdhsa_system_sgpr_workgroup_id_y 1
		.amdhsa_system_sgpr_workgroup_id_z 1
		.amdhsa_system_sgpr_workgroup_info 0
		.amdhsa_system_vgpr_workitem_id 0
		.amdhsa_next_free_vgpr 11
		.amdhsa_next_free_sgpr 50
		.amdhsa_accum_offset 12
		.amdhsa_reserve_vcc 1
		.amdhsa_float_round_mode_32 0
		.amdhsa_float_round_mode_16_64 0
		.amdhsa_float_denorm_mode_32 3
		.amdhsa_float_denorm_mode_16_64 3
		.amdhsa_dx10_clamp 1
		.amdhsa_ieee_mode 1
		.amdhsa_fp16_overflow 0
		.amdhsa_tg_split 0
		.amdhsa_exception_fp_ieee_invalid_op 0
		.amdhsa_exception_fp_denorm_src 0
		.amdhsa_exception_fp_ieee_div_zero 0
		.amdhsa_exception_fp_ieee_overflow 0
		.amdhsa_exception_fp_ieee_underflow 0
		.amdhsa_exception_fp_ieee_inexact 0
		.amdhsa_exception_int_div_zero 0
	.end_amdhsa_kernel
	.section	.text._ZL12rms_norm_f32ILi256ELb1ELb0EEvPKfPfilllfS1_lll15HIP_vector_typeIjLj3EES4_S4_S4_S1_lllS4_S4_S4_S4_,"axG",@progbits,_ZL12rms_norm_f32ILi256ELb1ELb0EEvPKfPfilllfS1_lll15HIP_vector_typeIjLj3EES4_S4_S4_S1_lllS4_S4_S4_S4_,comdat
.Lfunc_end6:
	.size	_ZL12rms_norm_f32ILi256ELb1ELb0EEvPKfPfilllfS1_lll15HIP_vector_typeIjLj3EES4_S4_S4_S1_lllS4_S4_S4_S4_, .Lfunc_end6-_ZL12rms_norm_f32ILi256ELb1ELb0EEvPKfPfilllfS1_lll15HIP_vector_typeIjLj3EES4_S4_S4_S1_lllS4_S4_S4_S4_
                                        ; -- End function
	.set _ZL12rms_norm_f32ILi256ELb1ELb0EEvPKfPfilllfS1_lll15HIP_vector_typeIjLj3EES4_S4_S4_S1_lllS4_S4_S4_S4_.num_vgpr, 11
	.set _ZL12rms_norm_f32ILi256ELb1ELb0EEvPKfPfilllfS1_lll15HIP_vector_typeIjLj3EES4_S4_S4_S1_lllS4_S4_S4_S4_.num_agpr, 0
	.set _ZL12rms_norm_f32ILi256ELb1ELb0EEvPKfPfilllfS1_lll15HIP_vector_typeIjLj3EES4_S4_S4_S1_lllS4_S4_S4_S4_.numbered_sgpr, 50
	.set _ZL12rms_norm_f32ILi256ELb1ELb0EEvPKfPfilllfS1_lll15HIP_vector_typeIjLj3EES4_S4_S4_S1_lllS4_S4_S4_S4_.num_named_barrier, 0
	.set _ZL12rms_norm_f32ILi256ELb1ELb0EEvPKfPfilllfS1_lll15HIP_vector_typeIjLj3EES4_S4_S4_S1_lllS4_S4_S4_S4_.private_seg_size, 0
	.set _ZL12rms_norm_f32ILi256ELb1ELb0EEvPKfPfilllfS1_lll15HIP_vector_typeIjLj3EES4_S4_S4_S1_lllS4_S4_S4_S4_.uses_vcc, 1
	.set _ZL12rms_norm_f32ILi256ELb1ELb0EEvPKfPfilllfS1_lll15HIP_vector_typeIjLj3EES4_S4_S4_S1_lllS4_S4_S4_S4_.uses_flat_scratch, 0
	.set _ZL12rms_norm_f32ILi256ELb1ELb0EEvPKfPfilllfS1_lll15HIP_vector_typeIjLj3EES4_S4_S4_S1_lllS4_S4_S4_S4_.has_dyn_sized_stack, 0
	.set _ZL12rms_norm_f32ILi256ELb1ELb0EEvPKfPfilllfS1_lll15HIP_vector_typeIjLj3EES4_S4_S4_S1_lllS4_S4_S4_S4_.has_recursion, 0
	.set _ZL12rms_norm_f32ILi256ELb1ELb0EEvPKfPfilllfS1_lll15HIP_vector_typeIjLj3EES4_S4_S4_S1_lllS4_S4_S4_S4_.has_indirect_call, 0
	.section	.AMDGPU.csdata,"",@progbits
; Kernel info:
; codeLenInByte = 1248
; TotalNumSgprs: 56
; NumVgprs: 11
; NumAgprs: 0
; TotalNumVgprs: 11
; ScratchSize: 0
; MemoryBound: 0
; FloatMode: 240
; IeeeMode: 1
; LDSByteSize: 0 bytes/workgroup (compile time only)
; SGPRBlocks: 6
; VGPRBlocks: 1
; NumSGPRsForWavesPerEU: 56
; NumVGPRsForWavesPerEU: 11
; AccumOffset: 12
; Occupancy: 8
; WaveLimiterHint : 0
; COMPUTE_PGM_RSRC2:SCRATCH_EN: 0
; COMPUTE_PGM_RSRC2:USER_SGPR: 2
; COMPUTE_PGM_RSRC2:TRAP_HANDLER: 0
; COMPUTE_PGM_RSRC2:TGID_X_EN: 1
; COMPUTE_PGM_RSRC2:TGID_Y_EN: 1
; COMPUTE_PGM_RSRC2:TGID_Z_EN: 1
; COMPUTE_PGM_RSRC2:TIDIG_COMP_CNT: 0
; COMPUTE_PGM_RSRC3_GFX90A:ACCUM_OFFSET: 2
; COMPUTE_PGM_RSRC3_GFX90A:TG_SPLIT: 0
	.section	.text._ZL12rms_norm_f32ILi1024ELb1ELb0EEvPKfPfilllfS1_lll15HIP_vector_typeIjLj3EES4_S4_S4_S1_lllS4_S4_S4_S4_,"axG",@progbits,_ZL12rms_norm_f32ILi1024ELb1ELb0EEvPKfPfilllfS1_lll15HIP_vector_typeIjLj3EES4_S4_S4_S1_lllS4_S4_S4_S4_,comdat
	.globl	_ZL12rms_norm_f32ILi1024ELb1ELb0EEvPKfPfilllfS1_lll15HIP_vector_typeIjLj3EES4_S4_S4_S1_lllS4_S4_S4_S4_ ; -- Begin function _ZL12rms_norm_f32ILi1024ELb1ELb0EEvPKfPfilllfS1_lll15HIP_vector_typeIjLj3EES4_S4_S4_S1_lllS4_S4_S4_S4_
	.p2align	8
	.type	_ZL12rms_norm_f32ILi1024ELb1ELb0EEvPKfPfilllfS1_lll15HIP_vector_typeIjLj3EES4_S4_S4_S1_lllS4_S4_S4_S4_,@function
_ZL12rms_norm_f32ILi1024ELb1ELb0EEvPKfPfilllfS1_lll15HIP_vector_typeIjLj3EES4_S4_S4_S1_lllS4_S4_S4_S4_: ; @_ZL12rms_norm_f32ILi1024ELb1ELb0EEvPKfPfilllfS1_lll15HIP_vector_typeIjLj3EES4_S4_S4_S1_lllS4_S4_S4_S4_
; %bb.0:
	s_load_dwordx4 s[24:27], s[0:1], 0x0
	s_load_dword s33, s[0:1], 0x10
	s_load_dwordx4 s[16:19], s[0:1], 0x18
	s_load_dwordx2 s[6:7], s[0:1], 0x28
	s_load_dwordx8 s[8:15], s[0:1], 0x58
	s_load_dwordx4 s[28:31], s[0:1], 0x78
	s_load_dwordx2 s[40:41], s[0:1], 0xd8
	s_ashr_i32 s5, s4, 31
	s_ashr_i32 s20, s3, 31
	;; [unrolled: 1-line block ×3, first 2 shown]
	s_waitcnt lgkmcnt(0)
	v_cmp_gt_i32_e32 vcc, s33, v0
	v_mov_b32_e32 v3, 0
	s_mul_i32 s46, s6, s5
	s_mul_hi_u32 s49, s6, s4
	s_mul_i32 s50, s7, s4
	s_mul_i32 s38, s6, s4
	s_mul_i32 s45, s18, s20
	s_mul_hi_u32 s47, s18, s3
	s_mul_i32 s48, s19, s3
	s_mul_i32 s36, s18, s3
	;; [unrolled: 4-line block ×3, first 2 shown]
	v_lshlrev_b32_e32 v2, 2, v0
	s_and_saveexec_b64 s[16:17], vcc
	s_cbranch_execz .LBB7_4
; %bb.1:
	s_add_i32 s5, s49, s46
	s_add_i32 s39, s5, s50
	;; [unrolled: 1-line block ×4, first 2 shown]
	s_lshl_b64 s[6:7], s[38:39], 2
	s_lshl_b64 s[18:19], s[36:37], 2
	s_add_u32 s5, s6, s18
	s_addc_u32 s18, s7, s19
	s_add_i32 s6, s43, s42
	s_add_i32 s35, s6, s44
	s_lshl_b64 s[6:7], s[34:35], 2
	s_add_u32 s5, s5, s6
	s_addc_u32 s7, s18, s7
	s_add_u32 s6, s24, s5
	v_mov_b32_e32 v3, 0
	s_addc_u32 s7, s25, s7
	v_lshl_add_u64 v[4:5], s[6:7], 0, v[2:3]
	s_mov_b64 s[18:19], 0
	s_mov_b64 s[20:21], 0x1000
	v_mov_b32_e32 v1, v0
.LBB7_2:                                ; =>This Inner Loop Header: Depth=1
	global_load_dword v6, v[4:5], off
	v_add_u32_e32 v1, 0x400, v1
	v_cmp_le_i32_e64 s[6:7], s33, v1
	v_lshl_add_u64 v[4:5], v[4:5], 0, s[20:21]
	s_or_b64 s[18:19], s[6:7], s[18:19]
	s_waitcnt vmcnt(0)
	v_fmac_f32_e32 v3, v6, v6
	s_andn2_b64 exec, exec, s[18:19]
	s_cbranch_execnz .LBB7_2
; %bb.3:
	s_or_b64 exec, exec, s[18:19]
.LBB7_4:
	s_or_b64 exec, exec, s[16:17]
	v_mbcnt_lo_u32_b32 v1, -1, 0
	v_mbcnt_hi_u32_b32 v6, -1, v1
	v_and_b32_e32 v1, 0x60, v6
	v_add_u32_e32 v7, 32, v1
	v_xor_b32_e32 v1, 16, v6
	v_cmp_lt_i32_e64 s[6:7], v1, v7
	v_xor_b32_e32 v5, 8, v6
	v_xor_b32_e32 v8, 4, v6
	v_cndmask_b32_e64 v1, v6, v1, s[6:7]
	v_lshlrev_b32_e32 v1, 2, v1
	ds_bpermute_b32 v4, v1, v3
	v_cmp_lt_i32_e64 s[6:7], v5, v7
	v_xor_b32_e32 v9, 2, v6
	v_xor_b32_e32 v10, 1, v6
	s_waitcnt lgkmcnt(0)
	v_add_f32_e32 v4, v3, v4
	v_cndmask_b32_e64 v3, v6, v5, s[6:7]
	v_lshlrev_b32_e32 v3, 2, v3
	ds_bpermute_b32 v5, v3, v4
	v_cmp_lt_i32_e64 s[6:7], v8, v7
	s_waitcnt lgkmcnt(0)
	v_add_f32_e32 v5, v4, v5
	v_cndmask_b32_e64 v4, v6, v8, s[6:7]
	v_lshlrev_b32_e32 v4, 2, v4
	ds_bpermute_b32 v8, v4, v5
	v_cmp_lt_i32_e64 s[6:7], v9, v7
	;; [unrolled: 6-line block ×3, first 2 shown]
	v_and_b32_e32 v7, 31, v0
	s_waitcnt lgkmcnt(0)
	v_add_f32_e32 v8, v8, v9
	v_cndmask_b32_e64 v6, v6, v10, s[6:7]
	v_lshlrev_b32_e32 v6, 2, v6
	ds_bpermute_b32 v9, v6, v8
	v_cmp_eq_u32_e64 s[6:7], 0, v7
	s_and_saveexec_b64 s[16:17], s[6:7]
	s_cbranch_execz .LBB7_6
; %bb.5:
	s_waitcnt lgkmcnt(0)
	v_add_f32_e32 v8, v8, v9
	v_lshrrev_b32_e32 v9, 3, v0
	v_add_u32_e32 v9, 0, v9
	ds_write_b32 v9, v8
.LBB7_6:
	s_or_b64 exec, exec, s[16:17]
	v_lshl_add_u32 v7, v7, 2, 0
	s_waitcnt lgkmcnt(0)
	s_barrier
	ds_read_b32 v7, v7
	s_mov_b32 s5, 0
	s_waitcnt lgkmcnt(0)
	ds_bpermute_b32 v1, v1, v7
	s_waitcnt lgkmcnt(0)
	v_add_f32_e32 v1, v7, v1
	ds_bpermute_b32 v3, v3, v1
	s_waitcnt lgkmcnt(0)
	v_add_f32_e32 v1, v1, v3
	;; [unrolled: 3-line block ×4, first 2 shown]
	ds_bpermute_b32 v3, v6, v1
	s_and_saveexec_b64 s[6:7], vcc
	s_cbranch_execz .LBB7_9
; %bb.7:
	v_cvt_f32_i32_e32 v4, s33
	s_waitcnt lgkmcnt(0)
	v_add_f32_e32 v1, v1, v3
	s_load_dwordx8 s[16:23], s[0:1], 0x38
	v_div_scale_f32 v3, s[6:7], v4, v4, v1
	v_rcp_f32_e32 v5, v3
	v_div_scale_f32 v6, vcc, v1, v4, v1
	s_load_dword s6, s[0:1], 0x30
	v_fma_f32 v7, -v3, v5, 1.0
	v_fmac_f32_e32 v5, v7, v5
	v_mul_f32_e32 v7, v6, v5
	v_fma_f32 v8, -v3, v7, v6
	v_fmac_f32_e32 v7, v8, v5
	v_fma_f32 v3, -v3, v7, v6
	s_mul_i32 s0, s41, s4
	v_div_fmas_f32 v3, v3, v5, v7
	s_add_i32 s0, s0, s3
	v_div_fixup_f32 v1, v3, v4, v1
	s_mul_i32 s0, s0, s40
	s_waitcnt lgkmcnt(0)
	v_add_f32_e32 v1, s6, v1
	s_mov_b32 s6, 0x800000
	s_add_i32 s0, s0, s2
	v_cmp_gt_f32_e32 vcc, s6, v1
	s_mul_i32 s6, s0, s33
	s_mul_hi_u32 s0, s11, s2
	s_add_i32 s0, s2, s0
	s_lshr_b32 s0, s0, s12
	s_mul_i32 s0, s0, s13
	s_sub_i32 s11, s2, s0
	s_mul_hi_u32 s0, s14, s3
	s_add_i32 s0, s3, s0
	s_lshr_b32 s0, s0, s15
	s_mul_i32 s0, s0, s28
	s_sub_i32 s2, s3, s0
	;; [unrolled: 5-line block ×3, first 2 shown]
	s_mul_i32 s1, s23, s0
	s_mul_hi_u32 s3, s22, s0
	s_add_i32 s1, s3, s1
	s_mul_i32 s3, s21, s2
	s_mul_hi_u32 s4, s20, s2
	s_mul_i32 s0, s22, s0
	s_add_i32 s3, s4, s3
	s_mul_i32 s4, s19, s11
	s_mul_hi_u32 s12, s18, s11
	s_ashr_i32 s7, s6, 31
	s_add_i32 s13, s12, s4
	s_lshl_b64 s[0:1], s[0:1], 2
	v_mul_f32_e32 v3, 0x4b800000, v1
	s_mul_i32 s2, s20, s2
	s_add_u32 s4, s16, s0
	v_cndmask_b32_e32 v1, v1, v3, vcc
	s_mul_i32 s12, s18, s11
	s_addc_u32 s11, s17, s1
	s_lshl_b64 s[0:1], s[2:3], 2
	v_rsq_f32_e32 v1, v1
	s_add_u32 s2, s4, s0
	s_addc_u32 s3, s11, s1
	s_lshl_b64 s[0:1], s[12:13], 2
	s_add_u32 s0, s2, s0
	s_addc_u32 s1, s3, s1
	s_lshl_b64 s[2:3], s[6:7], 2
	v_mul_f32_e32 v3, 0x45800000, v1
	s_add_u32 s2, s26, s2
	v_cndmask_b32_e32 v1, v1, v3, vcc
	v_mov_b32_e32 v3, 0
	s_addc_u32 s3, s27, s3
	v_lshl_add_u64 v[4:5], s[2:3], 0, v[2:3]
	s_add_i32 s2, s49, s46
	s_add_i32 s6, s47, s45
	s_add_i32 s39, s2, s50
	s_add_i32 s37, s6, s48
	s_lshl_b64 s[2:3], s[38:39], 2
	s_lshl_b64 s[6:7], s[36:37], 2
	s_add_u32 s6, s2, s6
	s_addc_u32 s7, s3, s7
	s_add_i32 s2, s43, s42
	s_add_i32 s35, s2, s44
	s_lshl_b64 s[2:3], s[34:35], 2
	s_add_u32 s2, s6, s2
	s_addc_u32 s3, s7, s3
	s_add_u32 s2, s24, s2
	s_addc_u32 s3, s25, s3
	s_mov_b32 s4, s8
	v_lshl_add_u64 v[2:3], s[2:3], 0, v[2:3]
	v_mad_u64_u32 v[6:7], s[2:3], v0, s8, 0
	s_lshl_b64 s[2:3], s[4:5], 10
	s_sub_i32 s8, 0, s10
	s_mov_b64 s[4:5], 0
	s_mov_b64 s[6:7], 0x1000
.LBB7_8:                                ; =>This Inner Loop Header: Depth=1
	v_add_u32_e32 v8, v0, v7
	v_lshrrev_b32_e32 v8, s9, v8
	v_mad_u64_u32 v[8:9], s[10:11], s8, v8, v[0:1]
	v_ashrrev_i32_e32 v9, 31, v8
	global_load_dword v10, v[2:3], off
	v_lshl_add_u64 v[8:9], v[8:9], 2, s[0:1]
	global_load_dword v8, v[8:9], off
	v_add_u32_e32 v0, 0x400, v0
	v_cmp_le_i32_e32 vcc, s33, v0
	v_lshl_add_u64 v[2:3], v[2:3], 0, s[6:7]
	v_lshl_add_u64 v[6:7], v[6:7], 0, s[2:3]
	s_or_b64 s[4:5], vcc, s[4:5]
	s_waitcnt vmcnt(1)
	v_mul_f32_e32 v9, v1, v10
	s_waitcnt vmcnt(0)
	v_mul_f32_e32 v8, v9, v8
	global_store_dword v[4:5], v8, off
	v_lshl_add_u64 v[4:5], v[4:5], 0, s[6:7]
	s_andn2_b64 exec, exec, s[4:5]
	s_cbranch_execnz .LBB7_8
.LBB7_9:
	s_endpgm
	.section	.rodata,"a",@progbits
	.p2align	6, 0x0
	.amdhsa_kernel _ZL12rms_norm_f32ILi1024ELb1ELb0EEvPKfPfilllfS1_lll15HIP_vector_typeIjLj3EES4_S4_S4_S1_lllS4_S4_S4_S4_
		.amdhsa_group_segment_fixed_size 0
		.amdhsa_private_segment_fixed_size 0
		.amdhsa_kernarg_size 472
		.amdhsa_user_sgpr_count 2
		.amdhsa_user_sgpr_dispatch_ptr 0
		.amdhsa_user_sgpr_queue_ptr 0
		.amdhsa_user_sgpr_kernarg_segment_ptr 1
		.amdhsa_user_sgpr_dispatch_id 0
		.amdhsa_user_sgpr_kernarg_preload_length 0
		.amdhsa_user_sgpr_kernarg_preload_offset 0
		.amdhsa_user_sgpr_private_segment_size 0
		.amdhsa_uses_dynamic_stack 0
		.amdhsa_enable_private_segment 0
		.amdhsa_system_sgpr_workgroup_id_x 1
		.amdhsa_system_sgpr_workgroup_id_y 1
		.amdhsa_system_sgpr_workgroup_id_z 1
		.amdhsa_system_sgpr_workgroup_info 0
		.amdhsa_system_vgpr_workitem_id 0
		.amdhsa_next_free_vgpr 11
		.amdhsa_next_free_sgpr 51
		.amdhsa_accum_offset 12
		.amdhsa_reserve_vcc 1
		.amdhsa_float_round_mode_32 0
		.amdhsa_float_round_mode_16_64 0
		.amdhsa_float_denorm_mode_32 3
		.amdhsa_float_denorm_mode_16_64 3
		.amdhsa_dx10_clamp 1
		.amdhsa_ieee_mode 1
		.amdhsa_fp16_overflow 0
		.amdhsa_tg_split 0
		.amdhsa_exception_fp_ieee_invalid_op 0
		.amdhsa_exception_fp_denorm_src 0
		.amdhsa_exception_fp_ieee_div_zero 0
		.amdhsa_exception_fp_ieee_overflow 0
		.amdhsa_exception_fp_ieee_underflow 0
		.amdhsa_exception_fp_ieee_inexact 0
		.amdhsa_exception_int_div_zero 0
	.end_amdhsa_kernel
	.section	.text._ZL12rms_norm_f32ILi1024ELb1ELb0EEvPKfPfilllfS1_lll15HIP_vector_typeIjLj3EES4_S4_S4_S1_lllS4_S4_S4_S4_,"axG",@progbits,_ZL12rms_norm_f32ILi1024ELb1ELb0EEvPKfPfilllfS1_lll15HIP_vector_typeIjLj3EES4_S4_S4_S1_lllS4_S4_S4_S4_,comdat
.Lfunc_end7:
	.size	_ZL12rms_norm_f32ILi1024ELb1ELb0EEvPKfPfilllfS1_lll15HIP_vector_typeIjLj3EES4_S4_S4_S1_lllS4_S4_S4_S4_, .Lfunc_end7-_ZL12rms_norm_f32ILi1024ELb1ELb0EEvPKfPfilllfS1_lll15HIP_vector_typeIjLj3EES4_S4_S4_S1_lllS4_S4_S4_S4_
                                        ; -- End function
	.set _ZL12rms_norm_f32ILi1024ELb1ELb0EEvPKfPfilllfS1_lll15HIP_vector_typeIjLj3EES4_S4_S4_S1_lllS4_S4_S4_S4_.num_vgpr, 11
	.set _ZL12rms_norm_f32ILi1024ELb1ELb0EEvPKfPfilllfS1_lll15HIP_vector_typeIjLj3EES4_S4_S4_S1_lllS4_S4_S4_S4_.num_agpr, 0
	.set _ZL12rms_norm_f32ILi1024ELb1ELb0EEvPKfPfilllfS1_lll15HIP_vector_typeIjLj3EES4_S4_S4_S1_lllS4_S4_S4_S4_.numbered_sgpr, 51
	.set _ZL12rms_norm_f32ILi1024ELb1ELb0EEvPKfPfilllfS1_lll15HIP_vector_typeIjLj3EES4_S4_S4_S1_lllS4_S4_S4_S4_.num_named_barrier, 0
	.set _ZL12rms_norm_f32ILi1024ELb1ELb0EEvPKfPfilllfS1_lll15HIP_vector_typeIjLj3EES4_S4_S4_S1_lllS4_S4_S4_S4_.private_seg_size, 0
	.set _ZL12rms_norm_f32ILi1024ELb1ELb0EEvPKfPfilllfS1_lll15HIP_vector_typeIjLj3EES4_S4_S4_S1_lllS4_S4_S4_S4_.uses_vcc, 1
	.set _ZL12rms_norm_f32ILi1024ELb1ELb0EEvPKfPfilllfS1_lll15HIP_vector_typeIjLj3EES4_S4_S4_S1_lllS4_S4_S4_S4_.uses_flat_scratch, 0
	.set _ZL12rms_norm_f32ILi1024ELb1ELb0EEvPKfPfilllfS1_lll15HIP_vector_typeIjLj3EES4_S4_S4_S1_lllS4_S4_S4_S4_.has_dyn_sized_stack, 0
	.set _ZL12rms_norm_f32ILi1024ELb1ELb0EEvPKfPfilllfS1_lll15HIP_vector_typeIjLj3EES4_S4_S4_S1_lllS4_S4_S4_S4_.has_recursion, 0
	.set _ZL12rms_norm_f32ILi1024ELb1ELb0EEvPKfPfilllfS1_lll15HIP_vector_typeIjLj3EES4_S4_S4_S1_lllS4_S4_S4_S4_.has_indirect_call, 0
	.section	.AMDGPU.csdata,"",@progbits
; Kernel info:
; codeLenInByte = 1228
; TotalNumSgprs: 57
; NumVgprs: 11
; NumAgprs: 0
; TotalNumVgprs: 11
; ScratchSize: 0
; MemoryBound: 0
; FloatMode: 240
; IeeeMode: 1
; LDSByteSize: 0 bytes/workgroup (compile time only)
; SGPRBlocks: 7
; VGPRBlocks: 1
; NumSGPRsForWavesPerEU: 57
; NumVGPRsForWavesPerEU: 11
; AccumOffset: 12
; Occupancy: 8
; WaveLimiterHint : 0
; COMPUTE_PGM_RSRC2:SCRATCH_EN: 0
; COMPUTE_PGM_RSRC2:USER_SGPR: 2
; COMPUTE_PGM_RSRC2:TRAP_HANDLER: 0
; COMPUTE_PGM_RSRC2:TGID_X_EN: 1
; COMPUTE_PGM_RSRC2:TGID_Y_EN: 1
; COMPUTE_PGM_RSRC2:TGID_Z_EN: 1
; COMPUTE_PGM_RSRC2:TIDIG_COMP_CNT: 0
; COMPUTE_PGM_RSRC3_GFX90A:ACCUM_OFFSET: 2
; COMPUTE_PGM_RSRC3_GFX90A:TG_SPLIT: 0
	.section	.text._ZL12rms_norm_f32ILi256ELb1ELb1EEvPKfPfilllfS1_lll15HIP_vector_typeIjLj3EES4_S4_S4_S1_lllS4_S4_S4_S4_,"axG",@progbits,_ZL12rms_norm_f32ILi256ELb1ELb1EEvPKfPfilllfS1_lll15HIP_vector_typeIjLj3EES4_S4_S4_S1_lllS4_S4_S4_S4_,comdat
	.globl	_ZL12rms_norm_f32ILi256ELb1ELb1EEvPKfPfilllfS1_lll15HIP_vector_typeIjLj3EES4_S4_S4_S1_lllS4_S4_S4_S4_ ; -- Begin function _ZL12rms_norm_f32ILi256ELb1ELb1EEvPKfPfilllfS1_lll15HIP_vector_typeIjLj3EES4_S4_S4_S1_lllS4_S4_S4_S4_
	.p2align	8
	.type	_ZL12rms_norm_f32ILi256ELb1ELb1EEvPKfPfilllfS1_lll15HIP_vector_typeIjLj3EES4_S4_S4_S1_lllS4_S4_S4_S4_,@function
_ZL12rms_norm_f32ILi256ELb1ELb1EEvPKfPfilllfS1_lll15HIP_vector_typeIjLj3EES4_S4_S4_S1_lllS4_S4_S4_S4_: ; @_ZL12rms_norm_f32ILi256ELb1ELb1EEvPKfPfilllfS1_lll15HIP_vector_typeIjLj3EES4_S4_S4_S1_lllS4_S4_S4_S4_
; %bb.0:
	s_ashr_i32 s5, s4, 31
	s_ashr_i32 s28, s3, 31
	;; [unrolled: 1-line block ×3, first 2 shown]
	s_load_dwordx4 s[44:47], s[0:1], 0x0
	s_load_dword s33, s[0:1], 0x10
	s_load_dwordx4 s[24:27], s[0:1], 0x18
	s_load_dwordx2 s[6:7], s[0:1], 0x28
	s_load_dwordx4 s[52:55], s[0:1], 0x78
	s_load_dwordx8 s[8:15], s[0:1], 0x58
	s_load_dwordx8 s[16:23], s[0:1], 0xa8
	s_load_dwordx4 s[48:51], s[0:1], 0xc8
	s_load_dwordx2 s[60:61], s[0:1], 0xd8
	s_waitcnt lgkmcnt(0)
	v_cmp_gt_i32_e32 vcc, s33, v0
	v_mov_b32_e32 v3, 0
	s_mul_i32 s65, s6, s5
	s_mul_hi_u32 s68, s6, s4
	s_mul_i32 s69, s7, s4
	s_mul_i32 s58, s6, s4
	s_mul_i32 s64, s26, s28
	s_mul_hi_u32 s66, s26, s3
	s_mul_i32 s67, s27, s3
	s_mul_i32 s56, s26, s3
	;; [unrolled: 4-line block ×3, first 2 shown]
	v_lshlrev_b32_e32 v2, 2, v0
	s_and_saveexec_b64 s[24:25], vcc
	s_cbranch_execz .LBB8_4
; %bb.1:
	s_add_i32 s6, s68, s65
	s_add_i32 s26, s66, s64
	;; [unrolled: 1-line block ×4, first 2 shown]
	s_lshl_b64 s[6:7], s[58:59], 2
	s_lshl_b64 s[26:27], s[56:57], 2
	s_add_u32 s26, s6, s26
	s_addc_u32 s27, s7, s27
	s_add_i32 s6, s62, s5
	s_add_i32 s35, s6, s63
	s_lshl_b64 s[6:7], s[34:35], 2
	s_add_u32 s6, s26, s6
	s_addc_u32 s7, s27, s7
	s_add_u32 s6, s44, s6
	v_mov_b32_e32 v3, 0
	s_addc_u32 s7, s45, s7
	v_lshl_add_u64 v[4:5], s[6:7], 0, v[2:3]
	s_mov_b64 s[26:27], 0
	s_mov_b64 s[28:29], 0x400
	v_mov_b32_e32 v1, v0
.LBB8_2:                                ; =>This Inner Loop Header: Depth=1
	global_load_dword v6, v[4:5], off
	v_add_u32_e32 v1, 0x100, v1
	v_cmp_le_i32_e64 s[6:7], s33, v1
	v_lshl_add_u64 v[4:5], v[4:5], 0, s[28:29]
	s_or_b64 s[26:27], s[6:7], s[26:27]
	s_waitcnt vmcnt(0)
	v_fmac_f32_e32 v3, v6, v6
	s_andn2_b64 exec, exec, s[26:27]
	s_cbranch_execnz .LBB8_2
; %bb.3:
	s_or_b64 exec, exec, s[26:27]
.LBB8_4:
	s_or_b64 exec, exec, s[24:25]
	v_mbcnt_lo_u32_b32 v1, -1, 0
	v_mbcnt_hi_u32_b32 v6, -1, v1
	v_and_b32_e32 v1, 0x60, v6
	v_add_u32_e32 v7, 32, v1
	v_xor_b32_e32 v1, 16, v6
	v_cmp_lt_i32_e64 s[6:7], v1, v7
	v_xor_b32_e32 v5, 8, v6
	v_xor_b32_e32 v8, 4, v6
	v_cndmask_b32_e64 v1, v6, v1, s[6:7]
	v_lshlrev_b32_e32 v1, 2, v1
	ds_bpermute_b32 v4, v1, v3
	v_cmp_lt_i32_e64 s[6:7], v5, v7
	v_xor_b32_e32 v9, 2, v6
	v_xor_b32_e32 v10, 1, v6
	s_waitcnt lgkmcnt(0)
	v_add_f32_e32 v4, v3, v4
	v_cndmask_b32_e64 v3, v6, v5, s[6:7]
	v_lshlrev_b32_e32 v3, 2, v3
	ds_bpermute_b32 v5, v3, v4
	v_cmp_lt_i32_e64 s[6:7], v8, v7
	s_waitcnt lgkmcnt(0)
	v_add_f32_e32 v5, v4, v5
	v_cndmask_b32_e64 v4, v6, v8, s[6:7]
	v_lshlrev_b32_e32 v4, 2, v4
	ds_bpermute_b32 v8, v4, v5
	v_cmp_lt_i32_e64 s[6:7], v9, v7
	;; [unrolled: 6-line block ×3, first 2 shown]
	v_and_b32_e32 v7, 31, v0
	s_waitcnt lgkmcnt(0)
	v_add_f32_e32 v8, v8, v9
	v_cndmask_b32_e64 v6, v6, v10, s[6:7]
	v_lshlrev_b32_e32 v6, 2, v6
	ds_bpermute_b32 v9, v6, v8
	v_cmp_eq_u32_e64 s[6:7], 0, v7
	s_and_saveexec_b64 s[24:25], s[6:7]
	s_cbranch_execz .LBB8_6
; %bb.5:
	s_waitcnt lgkmcnt(0)
	v_add_f32_e32 v8, v8, v9
	v_lshrrev_b32_e32 v9, 3, v0
	v_add_u32_e32 v9, 0, v9
	ds_write_b32 v9, v8
.LBB8_6:
	s_or_b64 exec, exec, s[24:25]
	v_cmp_gt_u32_e64 s[6:7], 8, v7
	v_mov_b32_e32 v8, 0
	s_waitcnt lgkmcnt(0)
	s_barrier
	s_and_saveexec_b64 s[24:25], s[6:7]
; %bb.7:
	v_lshl_add_u32 v7, v7, 2, 0
	ds_read_b32 v8, v7
; %bb.8:
	s_or_b64 exec, exec, s[24:25]
	s_waitcnt lgkmcnt(0)
	ds_bpermute_b32 v1, v1, v8
	s_waitcnt lgkmcnt(0)
	v_add_f32_e32 v1, v8, v1
	ds_bpermute_b32 v3, v3, v1
	s_waitcnt lgkmcnt(0)
	v_add_f32_e32 v1, v1, v3
	;; [unrolled: 3-line block ×4, first 2 shown]
	ds_bpermute_b32 v3, v6, v1
	s_and_saveexec_b64 s[6:7], vcc
	s_cbranch_execz .LBB8_11
; %bb.9:
	v_cvt_f32_i32_e32 v4, s33
	s_waitcnt lgkmcnt(0)
	v_add_f32_e32 v1, v1, v3
	s_load_dwordx8 s[36:43], s[0:1], 0x38
	s_load_dwordx8 s[24:31], s[0:1], 0x88
	v_div_scale_f32 v3, s[6:7], v4, v4, v1
	v_rcp_f32_e32 v5, v3
	v_div_scale_f32 v6, vcc, v1, v4, v1
	s_load_dword s6, s[0:1], 0x30
	v_fma_f32 v7, -v3, v5, 1.0
	v_fmac_f32_e32 v5, v7, v5
	v_mul_f32_e32 v7, v6, v5
	v_fma_f32 v8, -v3, v7, v6
	v_fmac_f32_e32 v7, v8, v5
	v_fma_f32 v3, -v3, v7, v6
	s_mul_i32 s0, s61, s4
	v_div_fmas_f32 v3, v3, v5, v7
	s_add_i32 s0, s0, s3
	v_div_fixup_f32 v1, v3, v4, v1
	s_mul_i32 s0, s0, s60
	s_waitcnt lgkmcnt(0)
	v_add_f32_e32 v1, s6, v1
	s_mov_b32 s6, 0x800000
	s_add_i32 s0, s0, s2
	v_cmp_gt_f32_e32 vcc, s6, v1
	s_mul_i32 s6, s0, s33
	s_mul_hi_u32 s0, s11, s2
	s_add_i32 s0, s2, s0
	s_lshr_b32 s0, s0, s12
	s_mul_i32 s0, s0, s13
	s_sub_i32 s11, s2, s0
	s_mul_hi_u32 s0, s14, s3
	s_add_i32 s0, s3, s0
	s_lshr_b32 s0, s0, s15
	s_mul_i32 s0, s0, s52
	s_sub_i32 s12, s3, s0
	;; [unrolled: 5-line block ×3, first 2 shown]
	s_mul_i32 s1, s43, s0
	s_mul_hi_u32 s13, s42, s0
	s_add_i32 s1, s13, s1
	s_mul_i32 s13, s41, s12
	s_mul_hi_u32 s14, s40, s12
	s_mul_i32 s0, s42, s0
	s_add_i32 s13, s14, s13
	s_mul_i32 s14, s39, s11
	s_mul_hi_u32 s15, s38, s11
	s_ashr_i32 s7, s6, 31
	s_add_i32 s15, s15, s14
	s_lshl_b64 s[0:1], s[0:1], 2
	s_mul_i32 s12, s40, s12
	s_mul_i32 s14, s38, s11
	s_add_u32 s11, s36, s0
	s_addc_u32 s35, s37, s1
	s_lshl_b64 s[0:1], s[12:13], 2
	s_add_u32 s11, s11, s0
	s_addc_u32 s12, s35, s1
	s_lshl_b64 s[0:1], s[14:15], 2
	s_add_u32 s0, s11, s0
	s_mul_hi_u32 s11, s19, s2
	s_addc_u32 s1, s12, s1
	s_add_i32 s11, s2, s11
	s_lshr_b32 s11, s11, s20
	s_mul_i32 s11, s11, s21
	s_sub_i32 s11, s2, s11
	s_mul_hi_u32 s2, s22, s3
	s_add_i32 s2, s3, s2
	s_lshr_b32 s2, s2, s23
	s_mul_i32 s2, s2, s48
	s_sub_i32 s12, s3, s2
	s_mul_hi_u32 s2, s49, s4
	s_add_i32 s2, s4, s2
	s_lshr_b32 s2, s2, s50
	s_mul_i32 s2, s2, s51
	s_sub_i32 s2, s4, s2
	s_ashr_i32 s3, s2, 31
	s_mul_i32 s3, s30, s3
	s_mul_hi_u32 s4, s30, s2
	s_add_i32 s3, s4, s3
	s_mul_i32 s4, s31, s2
	s_add_i32 s3, s3, s4
	s_ashr_i32 s4, s12, 31
	s_mul_i32 s4, s28, s4
	s_mul_hi_u32 s13, s28, s12
	s_add_i32 s4, s13, s4
	s_mul_i32 s13, s29, s12
	s_add_i32 s13, s4, s13
	s_ashr_i32 s4, s11, 31
	s_mul_i32 s4, s26, s4
	s_mul_hi_u32 s14, s26, s11
	s_mul_i32 s2, s30, s2
	s_add_i32 s4, s14, s4
	s_mul_i32 s14, s27, s11
	s_add_i32 s15, s4, s14
	s_lshl_b64 s[2:3], s[2:3], 2
	s_mul_i32 s12, s28, s12
	s_add_u32 s4, s24, s2
	s_mul_i32 s14, s26, s11
	s_addc_u32 s11, s25, s3
	s_lshl_b64 s[2:3], s[12:13], 2
	v_mul_f32_e32 v3, 0x4b800000, v1
	s_add_u32 s4, s4, s2
	v_cndmask_b32_e32 v1, v1, v3, vcc
	s_addc_u32 s11, s11, s3
	s_lshl_b64 s[2:3], s[14:15], 2
	v_rsq_f32_e32 v1, v1
	s_add_u32 s2, s4, s2
	s_addc_u32 s3, s11, s3
	s_lshl_b64 s[6:7], s[6:7], 2
	s_add_u32 s6, s46, s6
	s_addc_u32 s7, s47, s7
	s_add_i32 s4, s68, s65
	v_mul_f32_e32 v3, 0x45800000, v1
	s_add_i32 s59, s4, s69
	s_add_i32 s4, s66, s64
	v_cndmask_b32_e32 v1, v1, v3, vcc
	v_mov_b32_e32 v3, 0
	s_add_i32 s57, s4, s67
	v_lshl_add_u64 v[4:5], s[6:7], 0, v[2:3]
	s_lshl_b64 s[6:7], s[58:59], 2
	s_lshl_b64 s[20:21], s[56:57], 2
	s_add_u32 s6, s6, s20
	s_addc_u32 s7, s7, s21
	s_add_i32 s4, s62, s5
	s_add_i32 s35, s4, s63
	s_lshl_b64 s[4:5], s[34:35], 2
	s_add_u32 s4, s6, s4
	s_addc_u32 s5, s7, s5
	s_add_u32 s4, s44, s4
	s_mov_b32 s13, 0
	s_addc_u32 s5, s45, s5
	s_mov_b32 s12, s8
	s_mov_b32 s14, s16
	;; [unrolled: 1-line block ×3, first 2 shown]
	v_lshl_add_u64 v[2:3], s[4:5], 0, v[2:3]
	v_mad_u64_u32 v[6:7], s[4:5], v0, s16, 0
	v_mad_u64_u32 v[8:9], s[6:7], v0, s8, 0
	s_lshl_b64 s[4:5], s[14:15], 8
	s_lshl_b64 s[6:7], s[12:13], 8
	s_sub_i32 s8, 0, s10
	s_sub_i32 s14, 0, s18
	s_mov_b64 s[10:11], 0
	s_mov_b64 s[12:13], 0x400
.LBB8_10:                               ; =>This Inner Loop Header: Depth=1
	v_add_u32_e32 v10, v0, v9
	v_add_u32_e32 v11, v0, v7
	v_lshrrev_b32_e32 v10, s9, v10
	v_lshrrev_b32_e32 v12, s17, v11
	v_mad_u64_u32 v[10:11], s[18:19], s8, v10, v[0:1]
	v_mad_u64_u32 v[12:13], s[18:19], s14, v12, v[0:1]
	v_ashrrev_i32_e32 v11, 31, v10
	global_load_dword v14, v[2:3], off
	v_ashrrev_i32_e32 v13, 31, v12
	v_lshl_add_u64 v[10:11], v[10:11], 2, s[0:1]
	v_lshl_add_u64 v[12:13], v[12:13], 2, s[2:3]
	global_load_dword v15, v[10:11], off
	global_load_dword v16, v[12:13], off
	v_add_u32_e32 v0, 0x100, v0
	v_cmp_le_i32_e32 vcc, s33, v0
	v_lshl_add_u64 v[2:3], v[2:3], 0, s[12:13]
	v_lshl_add_u64 v[6:7], v[6:7], 0, s[4:5]
	;; [unrolled: 1-line block ×3, first 2 shown]
	s_or_b64 s[10:11], vcc, s[10:11]
	s_waitcnt vmcnt(2)
	v_mul_f32_e32 v10, v1, v14
	s_waitcnt vmcnt(0)
	v_fmac_f32_e32 v16, v10, v15
	global_store_dword v[4:5], v16, off
	v_lshl_add_u64 v[4:5], v[4:5], 0, s[12:13]
	s_andn2_b64 exec, exec, s[10:11]
	s_cbranch_execnz .LBB8_10
.LBB8_11:
	s_endpgm
	.section	.rodata,"a",@progbits
	.p2align	6, 0x0
	.amdhsa_kernel _ZL12rms_norm_f32ILi256ELb1ELb1EEvPKfPfilllfS1_lll15HIP_vector_typeIjLj3EES4_S4_S4_S1_lllS4_S4_S4_S4_
		.amdhsa_group_segment_fixed_size 0
		.amdhsa_private_segment_fixed_size 0
		.amdhsa_kernarg_size 472
		.amdhsa_user_sgpr_count 2
		.amdhsa_user_sgpr_dispatch_ptr 0
		.amdhsa_user_sgpr_queue_ptr 0
		.amdhsa_user_sgpr_kernarg_segment_ptr 1
		.amdhsa_user_sgpr_dispatch_id 0
		.amdhsa_user_sgpr_kernarg_preload_length 0
		.amdhsa_user_sgpr_kernarg_preload_offset 0
		.amdhsa_user_sgpr_private_segment_size 0
		.amdhsa_uses_dynamic_stack 0
		.amdhsa_enable_private_segment 0
		.amdhsa_system_sgpr_workgroup_id_x 1
		.amdhsa_system_sgpr_workgroup_id_y 1
		.amdhsa_system_sgpr_workgroup_id_z 1
		.amdhsa_system_sgpr_workgroup_info 0
		.amdhsa_system_vgpr_workitem_id 0
		.amdhsa_next_free_vgpr 17
		.amdhsa_next_free_sgpr 70
		.amdhsa_accum_offset 20
		.amdhsa_reserve_vcc 1
		.amdhsa_float_round_mode_32 0
		.amdhsa_float_round_mode_16_64 0
		.amdhsa_float_denorm_mode_32 3
		.amdhsa_float_denorm_mode_16_64 3
		.amdhsa_dx10_clamp 1
		.amdhsa_ieee_mode 1
		.amdhsa_fp16_overflow 0
		.amdhsa_tg_split 0
		.amdhsa_exception_fp_ieee_invalid_op 0
		.amdhsa_exception_fp_denorm_src 0
		.amdhsa_exception_fp_ieee_div_zero 0
		.amdhsa_exception_fp_ieee_overflow 0
		.amdhsa_exception_fp_ieee_underflow 0
		.amdhsa_exception_fp_ieee_inexact 0
		.amdhsa_exception_int_div_zero 0
	.end_amdhsa_kernel
	.section	.text._ZL12rms_norm_f32ILi256ELb1ELb1EEvPKfPfilllfS1_lll15HIP_vector_typeIjLj3EES4_S4_S4_S1_lllS4_S4_S4_S4_,"axG",@progbits,_ZL12rms_norm_f32ILi256ELb1ELb1EEvPKfPfilllfS1_lll15HIP_vector_typeIjLj3EES4_S4_S4_S1_lllS4_S4_S4_S4_,comdat
.Lfunc_end8:
	.size	_ZL12rms_norm_f32ILi256ELb1ELb1EEvPKfPfilllfS1_lll15HIP_vector_typeIjLj3EES4_S4_S4_S1_lllS4_S4_S4_S4_, .Lfunc_end8-_ZL12rms_norm_f32ILi256ELb1ELb1EEvPKfPfilllfS1_lll15HIP_vector_typeIjLj3EES4_S4_S4_S1_lllS4_S4_S4_S4_
                                        ; -- End function
	.set _ZL12rms_norm_f32ILi256ELb1ELb1EEvPKfPfilllfS1_lll15HIP_vector_typeIjLj3EES4_S4_S4_S1_lllS4_S4_S4_S4_.num_vgpr, 17
	.set _ZL12rms_norm_f32ILi256ELb1ELb1EEvPKfPfilllfS1_lll15HIP_vector_typeIjLj3EES4_S4_S4_S1_lllS4_S4_S4_S4_.num_agpr, 0
	.set _ZL12rms_norm_f32ILi256ELb1ELb1EEvPKfPfilllfS1_lll15HIP_vector_typeIjLj3EES4_S4_S4_S1_lllS4_S4_S4_S4_.numbered_sgpr, 70
	.set _ZL12rms_norm_f32ILi256ELb1ELb1EEvPKfPfilllfS1_lll15HIP_vector_typeIjLj3EES4_S4_S4_S1_lllS4_S4_S4_S4_.num_named_barrier, 0
	.set _ZL12rms_norm_f32ILi256ELb1ELb1EEvPKfPfilllfS1_lll15HIP_vector_typeIjLj3EES4_S4_S4_S1_lllS4_S4_S4_S4_.private_seg_size, 0
	.set _ZL12rms_norm_f32ILi256ELb1ELb1EEvPKfPfilllfS1_lll15HIP_vector_typeIjLj3EES4_S4_S4_S1_lllS4_S4_S4_S4_.uses_vcc, 1
	.set _ZL12rms_norm_f32ILi256ELb1ELb1EEvPKfPfilllfS1_lll15HIP_vector_typeIjLj3EES4_S4_S4_S1_lllS4_S4_S4_S4_.uses_flat_scratch, 0
	.set _ZL12rms_norm_f32ILi256ELb1ELb1EEvPKfPfilllfS1_lll15HIP_vector_typeIjLj3EES4_S4_S4_S1_lllS4_S4_S4_S4_.has_dyn_sized_stack, 0
	.set _ZL12rms_norm_f32ILi256ELb1ELb1EEvPKfPfilllfS1_lll15HIP_vector_typeIjLj3EES4_S4_S4_S1_lllS4_S4_S4_S4_.has_recursion, 0
	.set _ZL12rms_norm_f32ILi256ELb1ELb1EEvPKfPfilllfS1_lll15HIP_vector_typeIjLj3EES4_S4_S4_S1_lllS4_S4_S4_S4_.has_indirect_call, 0
	.section	.AMDGPU.csdata,"",@progbits
; Kernel info:
; codeLenInByte = 1520
; TotalNumSgprs: 76
; NumVgprs: 17
; NumAgprs: 0
; TotalNumVgprs: 17
; ScratchSize: 0
; MemoryBound: 0
; FloatMode: 240
; IeeeMode: 1
; LDSByteSize: 0 bytes/workgroup (compile time only)
; SGPRBlocks: 9
; VGPRBlocks: 2
; NumSGPRsForWavesPerEU: 76
; NumVGPRsForWavesPerEU: 17
; AccumOffset: 20
; Occupancy: 8
; WaveLimiterHint : 1
; COMPUTE_PGM_RSRC2:SCRATCH_EN: 0
; COMPUTE_PGM_RSRC2:USER_SGPR: 2
; COMPUTE_PGM_RSRC2:TRAP_HANDLER: 0
; COMPUTE_PGM_RSRC2:TGID_X_EN: 1
; COMPUTE_PGM_RSRC2:TGID_Y_EN: 1
; COMPUTE_PGM_RSRC2:TGID_Z_EN: 1
; COMPUTE_PGM_RSRC2:TIDIG_COMP_CNT: 0
; COMPUTE_PGM_RSRC3_GFX90A:ACCUM_OFFSET: 4
; COMPUTE_PGM_RSRC3_GFX90A:TG_SPLIT: 0
	.section	.text._ZL12rms_norm_f32ILi1024ELb1ELb1EEvPKfPfilllfS1_lll15HIP_vector_typeIjLj3EES4_S4_S4_S1_lllS4_S4_S4_S4_,"axG",@progbits,_ZL12rms_norm_f32ILi1024ELb1ELb1EEvPKfPfilllfS1_lll15HIP_vector_typeIjLj3EES4_S4_S4_S1_lllS4_S4_S4_S4_,comdat
	.globl	_ZL12rms_norm_f32ILi1024ELb1ELb1EEvPKfPfilllfS1_lll15HIP_vector_typeIjLj3EES4_S4_S4_S1_lllS4_S4_S4_S4_ ; -- Begin function _ZL12rms_norm_f32ILi1024ELb1ELb1EEvPKfPfilllfS1_lll15HIP_vector_typeIjLj3EES4_S4_S4_S1_lllS4_S4_S4_S4_
	.p2align	8
	.type	_ZL12rms_norm_f32ILi1024ELb1ELb1EEvPKfPfilllfS1_lll15HIP_vector_typeIjLj3EES4_S4_S4_S1_lllS4_S4_S4_S4_,@function
_ZL12rms_norm_f32ILi1024ELb1ELb1EEvPKfPfilllfS1_lll15HIP_vector_typeIjLj3EES4_S4_S4_S1_lllS4_S4_S4_S4_: ; @_ZL12rms_norm_f32ILi1024ELb1ELb1EEvPKfPfilllfS1_lll15HIP_vector_typeIjLj3EES4_S4_S4_S1_lllS4_S4_S4_S4_
; %bb.0:
	s_ashr_i32 s5, s4, 31
	s_ashr_i32 s28, s3, 31
	;; [unrolled: 1-line block ×3, first 2 shown]
	s_load_dwordx4 s[44:47], s[0:1], 0x0
	s_load_dword s33, s[0:1], 0x10
	s_load_dwordx4 s[24:27], s[0:1], 0x18
	s_load_dwordx2 s[6:7], s[0:1], 0x28
	s_load_dwordx4 s[52:55], s[0:1], 0x78
	s_load_dwordx8 s[8:15], s[0:1], 0x58
	s_load_dwordx8 s[16:23], s[0:1], 0xa8
	s_load_dwordx4 s[48:51], s[0:1], 0xc8
	s_load_dwordx2 s[60:61], s[0:1], 0xd8
	s_waitcnt lgkmcnt(0)
	v_cmp_gt_i32_e32 vcc, s33, v0
	v_mov_b32_e32 v3, 0
	s_mul_i32 s66, s6, s5
	s_mul_hi_u32 s69, s6, s4
	s_mul_i32 s70, s7, s4
	s_mul_i32 s58, s6, s4
	s_mul_i32 s65, s26, s28
	s_mul_hi_u32 s67, s26, s3
	s_mul_i32 s68, s27, s3
	s_mul_i32 s56, s26, s3
	;; [unrolled: 4-line block ×3, first 2 shown]
	v_lshlrev_b32_e32 v2, 2, v0
	s_and_saveexec_b64 s[24:25], vcc
	s_cbranch_execz .LBB9_4
; %bb.1:
	s_add_i32 s5, s69, s66
	s_add_i32 s59, s5, s70
	s_add_i32 s5, s67, s65
	s_add_i32 s57, s5, s68
	s_lshl_b64 s[6:7], s[58:59], 2
	s_lshl_b64 s[26:27], s[56:57], 2
	s_add_u32 s5, s6, s26
	s_addc_u32 s26, s7, s27
	s_add_i32 s6, s63, s62
	s_add_i32 s35, s6, s64
	s_lshl_b64 s[6:7], s[34:35], 2
	s_add_u32 s5, s5, s6
	s_addc_u32 s7, s26, s7
	s_add_u32 s6, s44, s5
	v_mov_b32_e32 v3, 0
	s_addc_u32 s7, s45, s7
	v_lshl_add_u64 v[4:5], s[6:7], 0, v[2:3]
	s_mov_b64 s[26:27], 0
	s_mov_b64 s[28:29], 0x1000
	v_mov_b32_e32 v1, v0
.LBB9_2:                                ; =>This Inner Loop Header: Depth=1
	global_load_dword v6, v[4:5], off
	v_add_u32_e32 v1, 0x400, v1
	v_cmp_le_i32_e64 s[6:7], s33, v1
	v_lshl_add_u64 v[4:5], v[4:5], 0, s[28:29]
	s_or_b64 s[26:27], s[6:7], s[26:27]
	s_waitcnt vmcnt(0)
	v_fmac_f32_e32 v3, v6, v6
	s_andn2_b64 exec, exec, s[26:27]
	s_cbranch_execnz .LBB9_2
; %bb.3:
	s_or_b64 exec, exec, s[26:27]
.LBB9_4:
	s_or_b64 exec, exec, s[24:25]
	v_mbcnt_lo_u32_b32 v1, -1, 0
	v_mbcnt_hi_u32_b32 v6, -1, v1
	v_and_b32_e32 v1, 0x60, v6
	v_add_u32_e32 v7, 32, v1
	v_xor_b32_e32 v1, 16, v6
	v_cmp_lt_i32_e64 s[6:7], v1, v7
	v_xor_b32_e32 v5, 8, v6
	v_xor_b32_e32 v8, 4, v6
	v_cndmask_b32_e64 v1, v6, v1, s[6:7]
	v_lshlrev_b32_e32 v1, 2, v1
	ds_bpermute_b32 v4, v1, v3
	v_cmp_lt_i32_e64 s[6:7], v5, v7
	v_xor_b32_e32 v9, 2, v6
	v_xor_b32_e32 v10, 1, v6
	s_waitcnt lgkmcnt(0)
	v_add_f32_e32 v4, v3, v4
	v_cndmask_b32_e64 v3, v6, v5, s[6:7]
	v_lshlrev_b32_e32 v3, 2, v3
	ds_bpermute_b32 v5, v3, v4
	v_cmp_lt_i32_e64 s[6:7], v8, v7
	s_waitcnt lgkmcnt(0)
	v_add_f32_e32 v5, v4, v5
	v_cndmask_b32_e64 v4, v6, v8, s[6:7]
	v_lshlrev_b32_e32 v4, 2, v4
	ds_bpermute_b32 v8, v4, v5
	v_cmp_lt_i32_e64 s[6:7], v9, v7
	;; [unrolled: 6-line block ×3, first 2 shown]
	v_and_b32_e32 v7, 31, v0
	s_waitcnt lgkmcnt(0)
	v_add_f32_e32 v8, v8, v9
	v_cndmask_b32_e64 v6, v6, v10, s[6:7]
	v_lshlrev_b32_e32 v6, 2, v6
	ds_bpermute_b32 v9, v6, v8
	v_cmp_eq_u32_e64 s[6:7], 0, v7
	s_and_saveexec_b64 s[24:25], s[6:7]
	s_cbranch_execz .LBB9_6
; %bb.5:
	s_waitcnt lgkmcnt(0)
	v_add_f32_e32 v8, v8, v9
	v_lshrrev_b32_e32 v9, 3, v0
	v_add_u32_e32 v9, 0, v9
	ds_write_b32 v9, v8
.LBB9_6:
	s_or_b64 exec, exec, s[24:25]
	v_lshl_add_u32 v7, v7, 2, 0
	s_waitcnt lgkmcnt(0)
	s_barrier
	ds_read_b32 v7, v7
	s_mov_b32 s5, 0
	s_waitcnt lgkmcnt(0)
	ds_bpermute_b32 v1, v1, v7
	s_waitcnt lgkmcnt(0)
	v_add_f32_e32 v1, v7, v1
	ds_bpermute_b32 v3, v3, v1
	s_waitcnt lgkmcnt(0)
	v_add_f32_e32 v1, v1, v3
	;; [unrolled: 3-line block ×4, first 2 shown]
	ds_bpermute_b32 v3, v6, v1
	s_and_saveexec_b64 s[6:7], vcc
	s_cbranch_execz .LBB9_9
; %bb.7:
	v_cvt_f32_i32_e32 v4, s33
	s_waitcnt lgkmcnt(0)
	v_add_f32_e32 v1, v1, v3
	s_load_dwordx8 s[36:43], s[0:1], 0x38
	s_load_dwordx8 s[24:31], s[0:1], 0x88
	v_div_scale_f32 v3, s[6:7], v4, v4, v1
	v_rcp_f32_e32 v5, v3
	v_div_scale_f32 v6, vcc, v1, v4, v1
	s_load_dword s6, s[0:1], 0x30
	v_fma_f32 v7, -v3, v5, 1.0
	v_fmac_f32_e32 v5, v7, v5
	v_mul_f32_e32 v7, v6, v5
	v_fma_f32 v8, -v3, v7, v6
	v_fmac_f32_e32 v7, v8, v5
	v_fma_f32 v3, -v3, v7, v6
	s_mul_i32 s0, s61, s4
	v_div_fmas_f32 v3, v3, v5, v7
	s_add_i32 s0, s0, s3
	v_div_fixup_f32 v1, v3, v4, v1
	s_mul_i32 s0, s0, s60
	s_waitcnt lgkmcnt(0)
	v_add_f32_e32 v1, s6, v1
	s_mov_b32 s6, 0x800000
	s_add_i32 s0, s0, s2
	v_cmp_gt_f32_e32 vcc, s6, v1
	s_mul_i32 s6, s0, s33
	s_mul_hi_u32 s0, s11, s2
	s_add_i32 s0, s2, s0
	s_lshr_b32 s0, s0, s12
	s_mul_i32 s0, s0, s13
	s_sub_i32 s11, s2, s0
	s_mul_hi_u32 s0, s14, s3
	s_add_i32 s0, s3, s0
	s_lshr_b32 s0, s0, s15
	s_mul_i32 s0, s0, s52
	s_sub_i32 s12, s3, s0
	;; [unrolled: 5-line block ×3, first 2 shown]
	s_mul_i32 s1, s43, s0
	s_mul_hi_u32 s13, s42, s0
	s_add_i32 s1, s13, s1
	s_mul_i32 s13, s41, s12
	s_mul_hi_u32 s14, s40, s12
	s_mul_i32 s0, s42, s0
	s_add_i32 s13, s14, s13
	s_mul_i32 s14, s39, s11
	s_mul_hi_u32 s15, s38, s11
	s_ashr_i32 s7, s6, 31
	s_add_i32 s15, s15, s14
	s_lshl_b64 s[0:1], s[0:1], 2
	s_mul_i32 s12, s40, s12
	s_mul_i32 s14, s38, s11
	s_add_u32 s11, s36, s0
	s_addc_u32 s35, s37, s1
	s_lshl_b64 s[0:1], s[12:13], 2
	s_add_u32 s11, s11, s0
	s_addc_u32 s12, s35, s1
	s_lshl_b64 s[0:1], s[14:15], 2
	s_add_u32 s0, s11, s0
	s_mul_hi_u32 s11, s19, s2
	s_addc_u32 s1, s12, s1
	s_add_i32 s11, s2, s11
	s_lshr_b32 s11, s11, s20
	s_mul_i32 s11, s11, s21
	s_sub_i32 s11, s2, s11
	s_mul_hi_u32 s2, s22, s3
	s_add_i32 s2, s3, s2
	s_lshr_b32 s2, s2, s23
	s_mul_i32 s2, s2, s48
	s_sub_i32 s12, s3, s2
	s_mul_hi_u32 s2, s49, s4
	s_add_i32 s2, s4, s2
	s_lshr_b32 s2, s2, s50
	s_mul_i32 s2, s2, s51
	s_sub_i32 s2, s4, s2
	s_ashr_i32 s3, s2, 31
	s_mul_i32 s3, s30, s3
	s_mul_hi_u32 s4, s30, s2
	s_add_i32 s3, s4, s3
	s_mul_i32 s4, s31, s2
	s_add_i32 s3, s3, s4
	s_ashr_i32 s4, s12, 31
	s_mul_i32 s4, s28, s4
	s_mul_hi_u32 s13, s28, s12
	s_add_i32 s4, s13, s4
	s_mul_i32 s13, s29, s12
	s_add_i32 s13, s4, s13
	s_ashr_i32 s4, s11, 31
	s_mul_i32 s4, s26, s4
	s_mul_hi_u32 s14, s26, s11
	s_mul_i32 s2, s30, s2
	s_add_i32 s4, s14, s4
	s_mul_i32 s14, s27, s11
	s_add_i32 s15, s4, s14
	s_lshl_b64 s[2:3], s[2:3], 2
	v_mul_f32_e32 v3, 0x4b800000, v1
	s_mul_i32 s12, s28, s12
	s_add_u32 s4, s24, s2
	v_cndmask_b32_e32 v1, v1, v3, vcc
	s_mul_i32 s14, s26, s11
	s_addc_u32 s11, s25, s3
	s_lshl_b64 s[2:3], s[12:13], 2
	v_rsq_f32_e32 v1, v1
	s_add_u32 s4, s4, s2
	s_addc_u32 s11, s11, s3
	s_lshl_b64 s[2:3], s[14:15], 2
	s_add_u32 s2, s4, s2
	s_addc_u32 s3, s11, s3
	s_lshl_b64 s[6:7], s[6:7], 2
	v_mul_f32_e32 v3, 0x45800000, v1
	s_add_u32 s6, s46, s6
	v_cndmask_b32_e32 v1, v1, v3, vcc
	v_mov_b32_e32 v3, 0
	s_addc_u32 s7, s47, s7
	v_lshl_add_u64 v[4:5], s[6:7], 0, v[2:3]
	s_add_i32 s6, s69, s66
	s_add_i32 s11, s67, s65
	;; [unrolled: 1-line block ×4, first 2 shown]
	s_lshl_b64 s[6:7], s[58:59], 2
	s_lshl_b64 s[14:15], s[56:57], 2
	s_add_u32 s11, s6, s14
	s_addc_u32 s14, s7, s15
	s_add_i32 s6, s63, s62
	s_add_i32 s35, s6, s64
	s_lshl_b64 s[6:7], s[34:35], 2
	s_add_u32 s6, s11, s6
	s_addc_u32 s7, s14, s7
	s_add_u32 s6, s44, s6
	s_addc_u32 s7, s45, s7
	s_mov_b32 s12, s16
	s_mov_b32 s13, s5
	v_lshl_add_u64 v[2:3], s[6:7], 0, v[2:3]
	v_mad_u64_u32 v[6:7], s[6:7], v0, s16, 0
	s_mov_b32 s4, s8
	s_lshl_b64 s[6:7], s[12:13], 10
	v_mad_u64_u32 v[8:9], s[12:13], v0, s8, 0
	s_lshl_b64 s[4:5], s[4:5], 10
	s_sub_i32 s8, 0, s10
	s_sub_i32 s14, 0, s18
	s_mov_b64 s[10:11], 0
	s_mov_b64 s[12:13], 0x1000
.LBB9_8:                                ; =>This Inner Loop Header: Depth=1
	v_add_u32_e32 v10, v0, v9
	v_add_u32_e32 v11, v0, v7
	v_lshrrev_b32_e32 v10, s9, v10
	v_lshrrev_b32_e32 v12, s17, v11
	v_mad_u64_u32 v[10:11], s[18:19], s8, v10, v[0:1]
	v_mad_u64_u32 v[12:13], s[18:19], s14, v12, v[0:1]
	v_ashrrev_i32_e32 v11, 31, v10
	global_load_dword v14, v[2:3], off
	v_ashrrev_i32_e32 v13, 31, v12
	v_lshl_add_u64 v[10:11], v[10:11], 2, s[0:1]
	v_lshl_add_u64 v[12:13], v[12:13], 2, s[2:3]
	global_load_dword v15, v[10:11], off
	global_load_dword v16, v[12:13], off
	v_add_u32_e32 v0, 0x400, v0
	v_cmp_le_i32_e32 vcc, s33, v0
	v_lshl_add_u64 v[2:3], v[2:3], 0, s[12:13]
	v_lshl_add_u64 v[6:7], v[6:7], 0, s[6:7]
	;; [unrolled: 1-line block ×3, first 2 shown]
	s_or_b64 s[10:11], vcc, s[10:11]
	s_waitcnt vmcnt(2)
	v_mul_f32_e32 v10, v1, v14
	s_waitcnt vmcnt(0)
	v_fmac_f32_e32 v16, v10, v15
	global_store_dword v[4:5], v16, off
	v_lshl_add_u64 v[4:5], v[4:5], 0, s[12:13]
	s_andn2_b64 exec, exec, s[10:11]
	s_cbranch_execnz .LBB9_8
.LBB9_9:
	s_endpgm
	.section	.rodata,"a",@progbits
	.p2align	6, 0x0
	.amdhsa_kernel _ZL12rms_norm_f32ILi1024ELb1ELb1EEvPKfPfilllfS1_lll15HIP_vector_typeIjLj3EES4_S4_S4_S1_lllS4_S4_S4_S4_
		.amdhsa_group_segment_fixed_size 0
		.amdhsa_private_segment_fixed_size 0
		.amdhsa_kernarg_size 472
		.amdhsa_user_sgpr_count 2
		.amdhsa_user_sgpr_dispatch_ptr 0
		.amdhsa_user_sgpr_queue_ptr 0
		.amdhsa_user_sgpr_kernarg_segment_ptr 1
		.amdhsa_user_sgpr_dispatch_id 0
		.amdhsa_user_sgpr_kernarg_preload_length 0
		.amdhsa_user_sgpr_kernarg_preload_offset 0
		.amdhsa_user_sgpr_private_segment_size 0
		.amdhsa_uses_dynamic_stack 0
		.amdhsa_enable_private_segment 0
		.amdhsa_system_sgpr_workgroup_id_x 1
		.amdhsa_system_sgpr_workgroup_id_y 1
		.amdhsa_system_sgpr_workgroup_id_z 1
		.amdhsa_system_sgpr_workgroup_info 0
		.amdhsa_system_vgpr_workitem_id 0
		.amdhsa_next_free_vgpr 17
		.amdhsa_next_free_sgpr 71
		.amdhsa_accum_offset 20
		.amdhsa_reserve_vcc 1
		.amdhsa_float_round_mode_32 0
		.amdhsa_float_round_mode_16_64 0
		.amdhsa_float_denorm_mode_32 3
		.amdhsa_float_denorm_mode_16_64 3
		.amdhsa_dx10_clamp 1
		.amdhsa_ieee_mode 1
		.amdhsa_fp16_overflow 0
		.amdhsa_tg_split 0
		.amdhsa_exception_fp_ieee_invalid_op 0
		.amdhsa_exception_fp_denorm_src 0
		.amdhsa_exception_fp_ieee_div_zero 0
		.amdhsa_exception_fp_ieee_overflow 0
		.amdhsa_exception_fp_ieee_underflow 0
		.amdhsa_exception_fp_ieee_inexact 0
		.amdhsa_exception_int_div_zero 0
	.end_amdhsa_kernel
	.section	.text._ZL12rms_norm_f32ILi1024ELb1ELb1EEvPKfPfilllfS1_lll15HIP_vector_typeIjLj3EES4_S4_S4_S1_lllS4_S4_S4_S4_,"axG",@progbits,_ZL12rms_norm_f32ILi1024ELb1ELb1EEvPKfPfilllfS1_lll15HIP_vector_typeIjLj3EES4_S4_S4_S1_lllS4_S4_S4_S4_,comdat
.Lfunc_end9:
	.size	_ZL12rms_norm_f32ILi1024ELb1ELb1EEvPKfPfilllfS1_lll15HIP_vector_typeIjLj3EES4_S4_S4_S1_lllS4_S4_S4_S4_, .Lfunc_end9-_ZL12rms_norm_f32ILi1024ELb1ELb1EEvPKfPfilllfS1_lll15HIP_vector_typeIjLj3EES4_S4_S4_S1_lllS4_S4_S4_S4_
                                        ; -- End function
	.set _ZL12rms_norm_f32ILi1024ELb1ELb1EEvPKfPfilllfS1_lll15HIP_vector_typeIjLj3EES4_S4_S4_S1_lllS4_S4_S4_S4_.num_vgpr, 17
	.set _ZL12rms_norm_f32ILi1024ELb1ELb1EEvPKfPfilllfS1_lll15HIP_vector_typeIjLj3EES4_S4_S4_S1_lllS4_S4_S4_S4_.num_agpr, 0
	.set _ZL12rms_norm_f32ILi1024ELb1ELb1EEvPKfPfilllfS1_lll15HIP_vector_typeIjLj3EES4_S4_S4_S1_lllS4_S4_S4_S4_.numbered_sgpr, 71
	.set _ZL12rms_norm_f32ILi1024ELb1ELb1EEvPKfPfilllfS1_lll15HIP_vector_typeIjLj3EES4_S4_S4_S1_lllS4_S4_S4_S4_.num_named_barrier, 0
	.set _ZL12rms_norm_f32ILi1024ELb1ELb1EEvPKfPfilllfS1_lll15HIP_vector_typeIjLj3EES4_S4_S4_S1_lllS4_S4_S4_S4_.private_seg_size, 0
	.set _ZL12rms_norm_f32ILi1024ELb1ELb1EEvPKfPfilllfS1_lll15HIP_vector_typeIjLj3EES4_S4_S4_S1_lllS4_S4_S4_S4_.uses_vcc, 1
	.set _ZL12rms_norm_f32ILi1024ELb1ELb1EEvPKfPfilllfS1_lll15HIP_vector_typeIjLj3EES4_S4_S4_S1_lllS4_S4_S4_S4_.uses_flat_scratch, 0
	.set _ZL12rms_norm_f32ILi1024ELb1ELb1EEvPKfPfilllfS1_lll15HIP_vector_typeIjLj3EES4_S4_S4_S1_lllS4_S4_S4_S4_.has_dyn_sized_stack, 0
	.set _ZL12rms_norm_f32ILi1024ELb1ELb1EEvPKfPfilllfS1_lll15HIP_vector_typeIjLj3EES4_S4_S4_S1_lllS4_S4_S4_S4_.has_recursion, 0
	.set _ZL12rms_norm_f32ILi1024ELb1ELb1EEvPKfPfilllfS1_lll15HIP_vector_typeIjLj3EES4_S4_S4_S1_lllS4_S4_S4_S4_.has_indirect_call, 0
	.section	.AMDGPU.csdata,"",@progbits
; Kernel info:
; codeLenInByte = 1500
; TotalNumSgprs: 77
; NumVgprs: 17
; NumAgprs: 0
; TotalNumVgprs: 17
; ScratchSize: 0
; MemoryBound: 0
; FloatMode: 240
; IeeeMode: 1
; LDSByteSize: 0 bytes/workgroup (compile time only)
; SGPRBlocks: 9
; VGPRBlocks: 2
; NumSGPRsForWavesPerEU: 77
; NumVGPRsForWavesPerEU: 17
; AccumOffset: 20
; Occupancy: 8
; WaveLimiterHint : 1
; COMPUTE_PGM_RSRC2:SCRATCH_EN: 0
; COMPUTE_PGM_RSRC2:USER_SGPR: 2
; COMPUTE_PGM_RSRC2:TRAP_HANDLER: 0
; COMPUTE_PGM_RSRC2:TGID_X_EN: 1
; COMPUTE_PGM_RSRC2:TGID_Y_EN: 1
; COMPUTE_PGM_RSRC2:TGID_Z_EN: 1
; COMPUTE_PGM_RSRC2:TIDIG_COMP_CNT: 0
; COMPUTE_PGM_RSRC3_GFX90A:ACCUM_OFFSET: 4
; COMPUTE_PGM_RSRC3_GFX90A:TG_SPLIT: 0
	.section	.text._ZL17rms_norm_back_f32ILi32EEvPKfS1_Pfif,"axG",@progbits,_ZL17rms_norm_back_f32ILi32EEvPKfS1_Pfif,comdat
	.globl	_ZL17rms_norm_back_f32ILi32EEvPKfS1_Pfif ; -- Begin function _ZL17rms_norm_back_f32ILi32EEvPKfS1_Pfif
	.p2align	8
	.type	_ZL17rms_norm_back_f32ILi32EEvPKfS1_Pfif,@function
_ZL17rms_norm_back_f32ILi32EEvPKfS1_Pfif: ; @_ZL17rms_norm_back_f32ILi32EEvPKfS1_Pfif
; %bb.0:
	s_load_dword s3, s[0:1], 0x2c
	s_load_dwordx8 s[4:11], s[0:1], 0x0
	v_bfe_u32 v1, v0, 10, 10
	v_and_b32_e32 v8, 0x3ff, v0
	v_mov_b32_e32 v3, 0
	s_waitcnt lgkmcnt(0)
	s_lshr_b32 s0, s3, 16
	s_mul_i32 s2, s2, s0
	v_add_u32_e32 v9, s2, v1
	v_cmp_gt_i32_e32 vcc, s10, v8
	v_lshlrev_b32_e32 v0, 2, v8
	v_mov_b32_e32 v2, v3
	s_and_saveexec_b64 s[2:3], vcc
	s_cbranch_execz .LBB10_4
; %bb.1:
	v_mad_i64_i32 v[2:3], s[0:1], s10, v9, 0
	v_mov_b32_e32 v1, 0
	v_lshl_add_u64 v[2:3], v[2:3], 2, v[0:1]
	v_lshl_add_u64 v[4:5], s[6:7], 0, v[2:3]
	;; [unrolled: 1-line block ×3, first 2 shown]
	s_mov_b64 s[12:13], 0
	s_mov_b64 s[14:15], 0x80
	v_mov_b32_e32 v10, v8
	v_mov_b32_e32 v2, v1
	;; [unrolled: 1-line block ×3, first 2 shown]
.LBB10_2:                               ; =>This Inner Loop Header: Depth=1
	global_load_dword v12, v[4:5], off
	global_load_dword v14, v[6:7], off
	v_add_u32_e32 v10, 32, v10
	v_cmp_le_i32_e64 s[0:1], s10, v10
	v_lshl_add_u64 v[4:5], v[4:5], 0, s[14:15]
	v_lshl_add_u64 v[6:7], v[6:7], 0, s[14:15]
	s_or_b64 s[12:13], s[0:1], s[12:13]
	s_waitcnt vmcnt(1)
	v_mov_b32_e32 v15, v12
	s_waitcnt vmcnt(0)
	v_pk_fma_f32 v[2:3], v[12:13], v[14:15], v[2:3] op_sel_hi:[0,1,1]
	s_andn2_b64 exec, exec, s[12:13]
	s_cbranch_execnz .LBB10_2
; %bb.3:
	s_or_b64 exec, exec, s[12:13]
.LBB10_4:
	s_or_b64 exec, exec, s[2:3]
	v_mbcnt_lo_u32_b32 v1, -1, 0
	v_mbcnt_hi_u32_b32 v1, -1, v1
	v_and_b32_e32 v4, 0x60, v1
	v_add_u32_e32 v4, 32, v4
	v_xor_b32_e32 v5, 16, v1
	v_cmp_lt_i32_e64 s[0:1], v5, v4
	v_xor_b32_e32 v7, 8, v1
	v_xor_b32_e32 v10, 4, v1
	v_cndmask_b32_e64 v5, v1, v5, s[0:1]
	v_lshlrev_b32_e32 v5, 2, v5
	ds_bpermute_b32 v6, v5, v3
	ds_bpermute_b32 v5, v5, v2
	v_cmp_lt_i32_e64 s[0:1], v7, v4
	v_xor_b32_e32 v11, 2, v1
	s_waitcnt lgkmcnt(1)
	v_add_f32_e32 v3, v3, v6
	v_cndmask_b32_e64 v6, v1, v7, s[0:1]
	v_lshlrev_b32_e32 v6, 2, v6
	ds_bpermute_b32 v7, v6, v3
	s_waitcnt lgkmcnt(1)
	v_add_f32_e32 v2, v2, v5
	ds_bpermute_b32 v5, v6, v2
	v_cmp_lt_i32_e64 s[0:1], v10, v4
	s_waitcnt lgkmcnt(1)
	v_add_f32_e32 v3, v3, v7
	v_cndmask_b32_e64 v7, v1, v10, s[0:1]
	v_lshlrev_b32_e32 v7, 2, v7
	s_waitcnt lgkmcnt(0)
	v_add_f32_e32 v2, v2, v5
	ds_bpermute_b32 v10, v7, v3
	ds_bpermute_b32 v5, v7, v2
	v_cmp_lt_i32_e64 s[0:1], v11, v4
	v_xor_b32_e32 v7, 1, v1
	s_waitcnt lgkmcnt(1)
	v_add_f32_e32 v3, v3, v10
	v_cndmask_b32_e64 v6, v1, v11, s[0:1]
	v_lshlrev_b32_e32 v6, 2, v6
	s_waitcnt lgkmcnt(0)
	v_add_f32_e32 v2, v2, v5
	ds_bpermute_b32 v10, v6, v3
	ds_bpermute_b32 v5, v6, v2
	v_cmp_lt_i32_e64 s[0:1], v7, v4
	s_waitcnt lgkmcnt(1)
	v_add_f32_e32 v3, v3, v10
	v_cndmask_b32_e64 v1, v1, v7, s[0:1]
	v_lshlrev_b32_e32 v6, 2, v1
	s_waitcnt lgkmcnt(0)
	v_add_f32_e32 v1, v2, v5
	ds_bpermute_b32 v4, v6, v3
	ds_bpermute_b32 v2, v6, v1
	s_and_saveexec_b64 s[0:1], vcc
	s_cbranch_execz .LBB10_7
; %bb.5:
	v_cvt_f32_i32_e32 v5, s10
	s_waitcnt lgkmcnt(1)
	v_add_f32_e32 v3, v3, v4
	s_waitcnt lgkmcnt(0)
	v_add_f32_e32 v1, v1, v2
	s_mov_b64 s[2:3], 0x80
	v_div_scale_f32 v4, s[0:1], v5, v5, v3
	v_rcp_f32_e32 v6, v4
	v_div_scale_f32 v7, vcc, v3, v5, v3
	s_mov_b32 s0, 0x800000
	v_fma_f32 v10, -v4, v6, 1.0
	v_fmac_f32_e32 v6, v10, v6
	v_mul_f32_e32 v10, v7, v6
	v_fma_f32 v11, -v4, v10, v7
	v_fmac_f32_e32 v10, v11, v6
	v_fma_f32 v4, -v4, v10, v7
	v_div_fmas_f32 v4, v4, v6, v10
	v_div_fixup_f32 v4, v4, v5, v3
	v_add_f32_e32 v4, s11, v4
	v_mul_f32_e32 v6, 0x4b800000, v4
	v_cmp_gt_f32_e32 vcc, s0, v4
	v_fmac_f32_e32 v3, s11, v5
	s_nop 0
	v_cndmask_b32_e32 v4, v4, v6, vcc
	v_rsq_f32_e32 v4, v4
	s_nop 0
	v_mul_f32_e32 v2, 0x45800000, v4
	v_cndmask_b32_e32 v2, v4, v2, vcc
	v_mul_f32_e64 v1, v1, -v2
	v_div_scale_f32 v4, s[0:1], v3, v3, v1
	v_rcp_f32_e32 v5, v4
	v_div_scale_f32 v6, vcc, v1, v3, v1
	v_fma_f32 v7, -v4, v5, 1.0
	v_fmac_f32_e32 v5, v7, v5
	v_mul_f32_e32 v7, v6, v5
	v_fma_f32 v10, -v4, v7, v6
	v_fmac_f32_e32 v7, v10, v5
	v_fma_f32 v4, -v4, v7, v6
	v_div_fmas_f32 v4, v4, v5, v7
	v_div_fixup_f32 v3, v4, v3, v1
	v_mad_i64_i32 v[4:5], s[0:1], s10, v9, 0
	v_mov_b32_e32 v1, 0
	v_lshl_add_u64 v[6:7], v[4:5], 2, v[0:1]
	v_lshl_add_u64 v[0:1], s[4:5], 0, v[6:7]
	;; [unrolled: 1-line block ×4, first 2 shown]
	s_mov_b64 s[0:1], 0
.LBB10_6:                               ; =>This Inner Loop Header: Depth=1
	global_load_dword v10, v[0:1], off
	global_load_dword v11, v[4:5], off
	v_add_u32_e32 v8, 32, v8
	v_cmp_le_i32_e32 vcc, s10, v8
	v_lshl_add_u64 v[0:1], v[0:1], 0, s[2:3]
	v_lshl_add_u64 v[4:5], v[4:5], 0, s[2:3]
	s_or_b64 s[0:1], vcc, s[0:1]
	s_waitcnt vmcnt(0)
	v_pk_mul_f32 v[10:11], v[2:3], v[10:11]
	s_nop 0
	v_add_f32_e32 v9, v10, v11
	global_store_dword v[6:7], v9, off
	v_lshl_add_u64 v[6:7], v[6:7], 0, s[2:3]
	s_andn2_b64 exec, exec, s[0:1]
	s_cbranch_execnz .LBB10_6
.LBB10_7:
	s_endpgm
	.section	.rodata,"a",@progbits
	.p2align	6, 0x0
	.amdhsa_kernel _ZL17rms_norm_back_f32ILi32EEvPKfS1_Pfif
		.amdhsa_group_segment_fixed_size 0
		.amdhsa_private_segment_fixed_size 0
		.amdhsa_kernarg_size 288
		.amdhsa_user_sgpr_count 2
		.amdhsa_user_sgpr_dispatch_ptr 0
		.amdhsa_user_sgpr_queue_ptr 0
		.amdhsa_user_sgpr_kernarg_segment_ptr 1
		.amdhsa_user_sgpr_dispatch_id 0
		.amdhsa_user_sgpr_kernarg_preload_length 0
		.amdhsa_user_sgpr_kernarg_preload_offset 0
		.amdhsa_user_sgpr_private_segment_size 0
		.amdhsa_uses_dynamic_stack 0
		.amdhsa_enable_private_segment 0
		.amdhsa_system_sgpr_workgroup_id_x 1
		.amdhsa_system_sgpr_workgroup_id_y 0
		.amdhsa_system_sgpr_workgroup_id_z 0
		.amdhsa_system_sgpr_workgroup_info 0
		.amdhsa_system_vgpr_workitem_id 1
		.amdhsa_next_free_vgpr 16
		.amdhsa_next_free_sgpr 16
		.amdhsa_accum_offset 16
		.amdhsa_reserve_vcc 1
		.amdhsa_float_round_mode_32 0
		.amdhsa_float_round_mode_16_64 0
		.amdhsa_float_denorm_mode_32 3
		.amdhsa_float_denorm_mode_16_64 3
		.amdhsa_dx10_clamp 1
		.amdhsa_ieee_mode 1
		.amdhsa_fp16_overflow 0
		.amdhsa_tg_split 0
		.amdhsa_exception_fp_ieee_invalid_op 0
		.amdhsa_exception_fp_denorm_src 0
		.amdhsa_exception_fp_ieee_div_zero 0
		.amdhsa_exception_fp_ieee_overflow 0
		.amdhsa_exception_fp_ieee_underflow 0
		.amdhsa_exception_fp_ieee_inexact 0
		.amdhsa_exception_int_div_zero 0
	.end_amdhsa_kernel
	.section	.text._ZL17rms_norm_back_f32ILi32EEvPKfS1_Pfif,"axG",@progbits,_ZL17rms_norm_back_f32ILi32EEvPKfS1_Pfif,comdat
.Lfunc_end10:
	.size	_ZL17rms_norm_back_f32ILi32EEvPKfS1_Pfif, .Lfunc_end10-_ZL17rms_norm_back_f32ILi32EEvPKfS1_Pfif
                                        ; -- End function
	.set _ZL17rms_norm_back_f32ILi32EEvPKfS1_Pfif.num_vgpr, 16
	.set _ZL17rms_norm_back_f32ILi32EEvPKfS1_Pfif.num_agpr, 0
	.set _ZL17rms_norm_back_f32ILi32EEvPKfS1_Pfif.numbered_sgpr, 16
	.set _ZL17rms_norm_back_f32ILi32EEvPKfS1_Pfif.num_named_barrier, 0
	.set _ZL17rms_norm_back_f32ILi32EEvPKfS1_Pfif.private_seg_size, 0
	.set _ZL17rms_norm_back_f32ILi32EEvPKfS1_Pfif.uses_vcc, 1
	.set _ZL17rms_norm_back_f32ILi32EEvPKfS1_Pfif.uses_flat_scratch, 0
	.set _ZL17rms_norm_back_f32ILi32EEvPKfS1_Pfif.has_dyn_sized_stack, 0
	.set _ZL17rms_norm_back_f32ILi32EEvPKfS1_Pfif.has_recursion, 0
	.set _ZL17rms_norm_back_f32ILi32EEvPKfS1_Pfif.has_indirect_call, 0
	.section	.AMDGPU.csdata,"",@progbits
; Kernel info:
; codeLenInByte = 892
; TotalNumSgprs: 22
; NumVgprs: 16
; NumAgprs: 0
; TotalNumVgprs: 16
; ScratchSize: 0
; MemoryBound: 0
; FloatMode: 240
; IeeeMode: 1
; LDSByteSize: 0 bytes/workgroup (compile time only)
; SGPRBlocks: 2
; VGPRBlocks: 1
; NumSGPRsForWavesPerEU: 22
; NumVGPRsForWavesPerEU: 16
; AccumOffset: 16
; Occupancy: 8
; WaveLimiterHint : 0
; COMPUTE_PGM_RSRC2:SCRATCH_EN: 0
; COMPUTE_PGM_RSRC2:USER_SGPR: 2
; COMPUTE_PGM_RSRC2:TRAP_HANDLER: 0
; COMPUTE_PGM_RSRC2:TGID_X_EN: 1
; COMPUTE_PGM_RSRC2:TGID_Y_EN: 0
; COMPUTE_PGM_RSRC2:TGID_Z_EN: 0
; COMPUTE_PGM_RSRC2:TIDIG_COMP_CNT: 1
; COMPUTE_PGM_RSRC3_GFX90A:ACCUM_OFFSET: 3
; COMPUTE_PGM_RSRC3_GFX90A:TG_SPLIT: 0
	.section	.text._ZL17rms_norm_back_f32ILi1024EEvPKfS1_Pfif,"axG",@progbits,_ZL17rms_norm_back_f32ILi1024EEvPKfS1_Pfif,comdat
	.globl	_ZL17rms_norm_back_f32ILi1024EEvPKfS1_Pfif ; -- Begin function _ZL17rms_norm_back_f32ILi1024EEvPKfS1_Pfif
	.p2align	8
	.type	_ZL17rms_norm_back_f32ILi1024EEvPKfS1_Pfif,@function
_ZL17rms_norm_back_f32ILi1024EEvPKfS1_Pfif: ; @_ZL17rms_norm_back_f32ILi1024EEvPKfS1_Pfif
; %bb.0:
	s_load_dword s3, s[0:1], 0x2c
	s_load_dwordx8 s[4:11], s[0:1], 0x0
	v_bfe_u32 v1, v0, 10, 10
	v_and_b32_e32 v8, 0x3ff, v0
	v_mov_b32_e32 v3, 0
	s_waitcnt lgkmcnt(0)
	s_lshr_b32 s0, s3, 16
	s_mul_i32 s2, s2, s0
	v_add_u32_e32 v9, s2, v1
	v_cmp_gt_i32_e32 vcc, s10, v8
	v_lshlrev_b32_e32 v0, 2, v8
	v_mov_b32_e32 v2, v3
	s_and_saveexec_b64 s[2:3], vcc
	s_cbranch_execz .LBB11_4
; %bb.1:
	v_mad_i64_i32 v[2:3], s[0:1], s10, v9, 0
	v_mov_b32_e32 v1, 0
	v_lshl_add_u64 v[2:3], v[2:3], 2, v[0:1]
	v_lshl_add_u64 v[4:5], s[6:7], 0, v[2:3]
	v_lshl_add_u64 v[6:7], s[4:5], 0, v[2:3]
	s_mov_b64 s[12:13], 0
	s_mov_b64 s[14:15], 0x1000
	v_mov_b32_e32 v10, v8
	v_mov_b32_e32 v2, v1
	;; [unrolled: 1-line block ×3, first 2 shown]
.LBB11_2:                               ; =>This Inner Loop Header: Depth=1
	global_load_dword v12, v[4:5], off
	global_load_dword v14, v[6:7], off
	v_add_u32_e32 v10, 0x400, v10
	v_cmp_le_i32_e64 s[0:1], s10, v10
	v_lshl_add_u64 v[4:5], v[4:5], 0, s[14:15]
	v_lshl_add_u64 v[6:7], v[6:7], 0, s[14:15]
	s_or_b64 s[12:13], s[0:1], s[12:13]
	s_waitcnt vmcnt(1)
	v_mov_b32_e32 v15, v12
	s_waitcnt vmcnt(0)
	v_pk_fma_f32 v[2:3], v[12:13], v[14:15], v[2:3] op_sel_hi:[0,1,1]
	s_andn2_b64 exec, exec, s[12:13]
	s_cbranch_execnz .LBB11_2
; %bb.3:
	s_or_b64 exec, exec, s[12:13]
.LBB11_4:
	s_or_b64 exec, exec, s[2:3]
	v_mbcnt_lo_u32_b32 v1, -1, 0
	v_mbcnt_hi_u32_b32 v5, -1, v1
	v_and_b32_e32 v1, 0x60, v5
	v_add_u32_e32 v7, 32, v1
	v_xor_b32_e32 v1, 16, v5
	v_cmp_lt_i32_e64 s[0:1], v1, v7
	v_xor_b32_e32 v6, 8, v5
	v_xor_b32_e32 v10, 4, v5
	v_cndmask_b32_e64 v1, v5, v1, s[0:1]
	v_lshlrev_b32_e32 v1, 2, v1
	ds_bpermute_b32 v4, v1, v3
	v_cmp_lt_i32_e64 s[0:1], v6, v7
	ds_bpermute_b32 v11, v1, v2
	v_xor_b32_e32 v12, 2, v5
	s_waitcnt lgkmcnt(1)
	v_add_f32_e32 v4, v3, v4
	v_cndmask_b32_e64 v3, v5, v6, s[0:1]
	v_lshlrev_b32_e32 v3, 2, v3
	ds_bpermute_b32 v6, v3, v4
	v_cmp_lt_i32_e64 s[0:1], v10, v7
	s_waitcnt lgkmcnt(0)
	v_add_f32_e32 v6, v4, v6
	v_cndmask_b32_e64 v4, v5, v10, s[0:1]
	v_lshlrev_b32_e32 v4, 2, v4
	ds_bpermute_b32 v10, v4, v6
	v_cmp_lt_i32_e64 s[0:1], v12, v7
	s_waitcnt lgkmcnt(0)
	v_add_f32_e32 v6, v6, v10
	v_add_f32_e32 v10, v2, v11
	ds_bpermute_b32 v11, v3, v10
	v_cndmask_b32_e64 v2, v5, v12, s[0:1]
	v_lshlrev_b32_e32 v2, 2, v2
	ds_bpermute_b32 v12, v2, v6
	s_waitcnt lgkmcnt(1)
	v_add_f32_e32 v10, v10, v11
	ds_bpermute_b32 v11, v4, v10
	s_waitcnt lgkmcnt(1)
	v_add_f32_e32 v6, v6, v12
	v_xor_b32_e32 v12, 1, v5
	v_cmp_lt_i32_e64 s[0:1], v12, v7
	s_waitcnt lgkmcnt(0)
	v_add_f32_e32 v11, v10, v11
	ds_bpermute_b32 v13, v2, v11
	v_cndmask_b32_e64 v5, v5, v12, s[0:1]
	v_lshlrev_b32_e32 v5, 2, v5
	ds_bpermute_b32 v10, v5, v6
	v_and_b32_e32 v7, 31, v8
	s_waitcnt lgkmcnt(1)
	v_add_f32_e32 v11, v11, v13
	ds_bpermute_b32 v12, v5, v11
	v_cmp_eq_u32_e64 s[0:1], 0, v7
	s_and_saveexec_b64 s[2:3], s[0:1]
	s_cbranch_execz .LBB11_6
; %bb.5:
	v_lshrrev_b32_e32 v13, 3, v8
	s_waitcnt lgkmcnt(0)
	v_add_f32_e32 v11, v11, v12
	v_add_f32_e32 v6, v6, v10
	ds_write2_b32 v13, v11, v6 offset1:32
.LBB11_6:
	s_or_b64 exec, exec, s[2:3]
	v_lshlrev_b32_e32 v6, 2, v7
	s_waitcnt lgkmcnt(0)
	s_barrier
	ds_read2_b32 v[6:7], v6 offset1:32
	s_waitcnt lgkmcnt(0)
	ds_bpermute_b32 v10, v1, v7
	ds_bpermute_b32 v1, v1, v6
	s_waitcnt lgkmcnt(1)
	v_add_f32_e32 v7, v7, v10
	s_waitcnt lgkmcnt(0)
	v_add_f32_e32 v1, v6, v1
	ds_bpermute_b32 v6, v3, v7
	ds_bpermute_b32 v3, v3, v1
	s_waitcnt lgkmcnt(1)
	v_add_f32_e32 v6, v7, v6
	s_waitcnt lgkmcnt(0)
	v_add_f32_e32 v1, v1, v3
	;; [unrolled: 6-line block ×4, first 2 shown]
	ds_bpermute_b32 v4, v5, v3
	ds_bpermute_b32 v2, v5, v1
	s_and_saveexec_b64 s[0:1], vcc
	s_cbranch_execz .LBB11_9
; %bb.7:
	v_cvt_f32_i32_e32 v5, s10
	s_waitcnt lgkmcnt(1)
	v_add_f32_e32 v3, v3, v4
	s_waitcnt lgkmcnt(0)
	v_add_f32_e32 v1, v1, v2
	s_mov_b64 s[2:3], 0x1000
	v_div_scale_f32 v4, s[0:1], v5, v5, v3
	v_rcp_f32_e32 v6, v4
	v_div_scale_f32 v7, vcc, v3, v5, v3
	s_mov_b32 s0, 0x800000
	v_fma_f32 v10, -v4, v6, 1.0
	v_fmac_f32_e32 v6, v10, v6
	v_mul_f32_e32 v10, v7, v6
	v_fma_f32 v11, -v4, v10, v7
	v_fmac_f32_e32 v10, v11, v6
	v_fma_f32 v4, -v4, v10, v7
	v_div_fmas_f32 v4, v4, v6, v10
	v_div_fixup_f32 v4, v4, v5, v3
	v_add_f32_e32 v4, s11, v4
	v_mul_f32_e32 v6, 0x4b800000, v4
	v_cmp_gt_f32_e32 vcc, s0, v4
	v_fmac_f32_e32 v3, s11, v5
	s_nop 0
	v_cndmask_b32_e32 v4, v4, v6, vcc
	v_rsq_f32_e32 v4, v4
	s_nop 0
	v_mul_f32_e32 v2, 0x45800000, v4
	v_cndmask_b32_e32 v2, v4, v2, vcc
	v_mul_f32_e64 v1, v1, -v2
	v_div_scale_f32 v4, s[0:1], v3, v3, v1
	v_rcp_f32_e32 v5, v4
	v_div_scale_f32 v6, vcc, v1, v3, v1
	v_fma_f32 v7, -v4, v5, 1.0
	v_fmac_f32_e32 v5, v7, v5
	v_mul_f32_e32 v7, v6, v5
	v_fma_f32 v10, -v4, v7, v6
	v_fmac_f32_e32 v7, v10, v5
	v_fma_f32 v4, -v4, v7, v6
	v_div_fmas_f32 v4, v4, v5, v7
	v_div_fixup_f32 v3, v4, v3, v1
	v_mad_i64_i32 v[4:5], s[0:1], s10, v9, 0
	v_mov_b32_e32 v1, 0
	v_lshl_add_u64 v[6:7], v[4:5], 2, v[0:1]
	v_lshl_add_u64 v[0:1], s[4:5], 0, v[6:7]
	;; [unrolled: 1-line block ×4, first 2 shown]
	s_mov_b64 s[0:1], 0
.LBB11_8:                               ; =>This Inner Loop Header: Depth=1
	global_load_dword v10, v[0:1], off
	global_load_dword v11, v[4:5], off
	v_add_u32_e32 v8, 0x400, v8
	v_cmp_le_i32_e32 vcc, s10, v8
	v_lshl_add_u64 v[0:1], v[0:1], 0, s[2:3]
	v_lshl_add_u64 v[4:5], v[4:5], 0, s[2:3]
	s_or_b64 s[0:1], vcc, s[0:1]
	s_waitcnt vmcnt(0)
	v_pk_mul_f32 v[10:11], v[2:3], v[10:11]
	s_nop 0
	v_add_f32_e32 v9, v10, v11
	global_store_dword v[6:7], v9, off
	v_lshl_add_u64 v[6:7], v[6:7], 0, s[2:3]
	s_andn2_b64 exec, exec, s[0:1]
	s_cbranch_execnz .LBB11_8
.LBB11_9:
	s_endpgm
	.section	.rodata,"a",@progbits
	.p2align	6, 0x0
	.amdhsa_kernel _ZL17rms_norm_back_f32ILi1024EEvPKfS1_Pfif
		.amdhsa_group_segment_fixed_size 256
		.amdhsa_private_segment_fixed_size 0
		.amdhsa_kernarg_size 288
		.amdhsa_user_sgpr_count 2
		.amdhsa_user_sgpr_dispatch_ptr 0
		.amdhsa_user_sgpr_queue_ptr 0
		.amdhsa_user_sgpr_kernarg_segment_ptr 1
		.amdhsa_user_sgpr_dispatch_id 0
		.amdhsa_user_sgpr_kernarg_preload_length 0
		.amdhsa_user_sgpr_kernarg_preload_offset 0
		.amdhsa_user_sgpr_private_segment_size 0
		.amdhsa_uses_dynamic_stack 0
		.amdhsa_enable_private_segment 0
		.amdhsa_system_sgpr_workgroup_id_x 1
		.amdhsa_system_sgpr_workgroup_id_y 0
		.amdhsa_system_sgpr_workgroup_id_z 0
		.amdhsa_system_sgpr_workgroup_info 0
		.amdhsa_system_vgpr_workitem_id 1
		.amdhsa_next_free_vgpr 16
		.amdhsa_next_free_sgpr 16
		.amdhsa_accum_offset 16
		.amdhsa_reserve_vcc 1
		.amdhsa_float_round_mode_32 0
		.amdhsa_float_round_mode_16_64 0
		.amdhsa_float_denorm_mode_32 3
		.amdhsa_float_denorm_mode_16_64 3
		.amdhsa_dx10_clamp 1
		.amdhsa_ieee_mode 1
		.amdhsa_fp16_overflow 0
		.amdhsa_tg_split 0
		.amdhsa_exception_fp_ieee_invalid_op 0
		.amdhsa_exception_fp_denorm_src 0
		.amdhsa_exception_fp_ieee_div_zero 0
		.amdhsa_exception_fp_ieee_overflow 0
		.amdhsa_exception_fp_ieee_underflow 0
		.amdhsa_exception_fp_ieee_inexact 0
		.amdhsa_exception_int_div_zero 0
	.end_amdhsa_kernel
	.section	.text._ZL17rms_norm_back_f32ILi1024EEvPKfS1_Pfif,"axG",@progbits,_ZL17rms_norm_back_f32ILi1024EEvPKfS1_Pfif,comdat
.Lfunc_end11:
	.size	_ZL17rms_norm_back_f32ILi1024EEvPKfS1_Pfif, .Lfunc_end11-_ZL17rms_norm_back_f32ILi1024EEvPKfS1_Pfif
                                        ; -- End function
	.set _ZL17rms_norm_back_f32ILi1024EEvPKfS1_Pfif.num_vgpr, 16
	.set _ZL17rms_norm_back_f32ILi1024EEvPKfS1_Pfif.num_agpr, 0
	.set _ZL17rms_norm_back_f32ILi1024EEvPKfS1_Pfif.numbered_sgpr, 16
	.set _ZL17rms_norm_back_f32ILi1024EEvPKfS1_Pfif.num_named_barrier, 0
	.set _ZL17rms_norm_back_f32ILi1024EEvPKfS1_Pfif.private_seg_size, 0
	.set _ZL17rms_norm_back_f32ILi1024EEvPKfS1_Pfif.uses_vcc, 1
	.set _ZL17rms_norm_back_f32ILi1024EEvPKfS1_Pfif.uses_flat_scratch, 0
	.set _ZL17rms_norm_back_f32ILi1024EEvPKfS1_Pfif.has_dyn_sized_stack, 0
	.set _ZL17rms_norm_back_f32ILi1024EEvPKfS1_Pfif.has_recursion, 0
	.set _ZL17rms_norm_back_f32ILi1024EEvPKfS1_Pfif.has_indirect_call, 0
	.section	.AMDGPU.csdata,"",@progbits
; Kernel info:
; codeLenInByte = 1112
; TotalNumSgprs: 22
; NumVgprs: 16
; NumAgprs: 0
; TotalNumVgprs: 16
; ScratchSize: 0
; MemoryBound: 0
; FloatMode: 240
; IeeeMode: 1
; LDSByteSize: 256 bytes/workgroup (compile time only)
; SGPRBlocks: 2
; VGPRBlocks: 1
; NumSGPRsForWavesPerEU: 22
; NumVGPRsForWavesPerEU: 16
; AccumOffset: 16
; Occupancy: 8
; WaveLimiterHint : 0
; COMPUTE_PGM_RSRC2:SCRATCH_EN: 0
; COMPUTE_PGM_RSRC2:USER_SGPR: 2
; COMPUTE_PGM_RSRC2:TRAP_HANDLER: 0
; COMPUTE_PGM_RSRC2:TGID_X_EN: 1
; COMPUTE_PGM_RSRC2:TGID_Y_EN: 0
; COMPUTE_PGM_RSRC2:TGID_Z_EN: 0
; COMPUTE_PGM_RSRC2:TIDIG_COMP_CNT: 1
; COMPUTE_PGM_RSRC3_GFX90A:ACCUM_OFFSET: 3
; COMPUTE_PGM_RSRC3_GFX90A:TG_SPLIT: 0
	.section	.text._ZL11l2_norm_f32ILi32EEvPKfPfilllf,"axG",@progbits,_ZL11l2_norm_f32ILi32EEvPKfPfilllf,comdat
	.globl	_ZL11l2_norm_f32ILi32EEvPKfPfilllf ; -- Begin function _ZL11l2_norm_f32ILi32EEvPKfPfilllf
	.p2align	8
	.type	_ZL11l2_norm_f32ILi32EEvPKfPfilllf,@function
_ZL11l2_norm_f32ILi32EEvPKfPfilllf:     ; @_ZL11l2_norm_f32ILi32EEvPKfPfilllf
; %bb.0:
	s_load_dwordx4 s[8:11], s[0:1], 0x0
	s_load_dword s5, s[0:1], 0x10
	s_load_dwordx4 s[20:23], s[0:1], 0x18
	s_load_dwordx2 s[6:7], s[0:1], 0x28
	s_load_dwordx2 s[12:13], s[0:1], 0x38
	s_ashr_i32 s14, s4, 31
	s_ashr_i32 s15, s3, 31
	;; [unrolled: 1-line block ×3, first 2 shown]
	s_waitcnt lgkmcnt(0)
	v_cmp_gt_i32_e32 vcc, s5, v0
	v_mov_b32_e32 v3, 0
	s_mul_i32 s30, s6, s14
	s_mul_hi_u32 s34, s6, s4
	s_mul_i32 s35, s7, s4
	s_mul_i32 s18, s6, s4
	s_mul_i32 s29, s22, s15
	s_mul_hi_u32 s31, s22, s3
	s_mul_i32 s33, s23, s3
	s_mul_i32 s16, s22, s3
	;; [unrolled: 4-line block ×3, first 2 shown]
	v_lshlrev_b32_e32 v2, 2, v0
	s_and_saveexec_b64 s[20:21], vcc
	s_cbranch_execz .LBB12_4
; %bb.1:
	s_add_i32 s6, s34, s30
	s_add_i32 s15, s31, s29
	;; [unrolled: 1-line block ×4, first 2 shown]
	s_lshl_b64 s[6:7], s[18:19], 2
	s_lshl_b64 s[22:23], s[16:17], 2
	s_add_u32 s17, s6, s22
	s_addc_u32 s19, s7, s23
	s_add_i32 s6, s27, s26
	s_add_i32 s15, s6, s28
	s_lshl_b64 s[6:7], s[14:15], 2
	s_add_u32 s6, s17, s6
	s_addc_u32 s7, s19, s7
	s_add_u32 s6, s8, s6
	v_mov_b32_e32 v3, 0
	s_addc_u32 s7, s9, s7
	v_lshl_add_u64 v[4:5], s[6:7], 0, v[2:3]
	s_mov_b64 s[22:23], 0
	s_mov_b64 s[24:25], 0x80
	v_mov_b32_e32 v1, v0
.LBB12_2:                               ; =>This Inner Loop Header: Depth=1
	global_load_dword v6, v[4:5], off
	v_add_u32_e32 v1, 32, v1
	v_cmp_le_i32_e64 s[6:7], s5, v1
	v_lshl_add_u64 v[4:5], v[4:5], 0, s[24:25]
	s_or_b64 s[22:23], s[6:7], s[22:23]
	s_waitcnt vmcnt(0)
	v_fmac_f32_e32 v3, v6, v6
	s_andn2_b64 exec, exec, s[22:23]
	s_cbranch_execnz .LBB12_2
; %bb.3:
	s_or_b64 exec, exec, s[22:23]
.LBB12_4:
	s_or_b64 exec, exec, s[20:21]
	v_mbcnt_lo_u32_b32 v1, -1, 0
	v_mbcnt_hi_u32_b32 v4, -1, v1
	v_and_b32_e32 v1, 0x60, v4
	v_add_u32_e32 v5, 32, v1
	v_xor_b32_e32 v1, 16, v4
	v_cmp_lt_i32_e64 s[6:7], v1, v5
	v_xor_b32_e32 v6, 8, v4
	s_nop 0
	v_cndmask_b32_e64 v1, v4, v1, s[6:7]
	v_lshlrev_b32_e32 v1, 2, v1
	ds_bpermute_b32 v1, v1, v3
	v_cmp_lt_i32_e64 s[6:7], v6, v5
	s_waitcnt lgkmcnt(0)
	v_add_f32_e32 v1, v3, v1
	v_cndmask_b32_e64 v3, v4, v6, s[6:7]
	v_lshlrev_b32_e32 v3, 2, v3
	ds_bpermute_b32 v3, v3, v1
	v_xor_b32_e32 v6, 4, v4
	v_cmp_lt_i32_e64 s[6:7], v6, v5
	s_waitcnt lgkmcnt(0)
	v_add_f32_e32 v1, v1, v3
	v_cndmask_b32_e64 v3, v4, v6, s[6:7]
	v_lshlrev_b32_e32 v3, 2, v3
	ds_bpermute_b32 v3, v3, v1
	v_xor_b32_e32 v6, 2, v4
	;; [unrolled: 7-line block ×3, first 2 shown]
	v_cmp_lt_i32_e64 s[6:7], v6, v5
	s_waitcnt lgkmcnt(0)
	v_add_f32_e32 v1, v1, v3
	v_cndmask_b32_e64 v3, v4, v6, s[6:7]
	v_lshlrev_b32_e32 v3, 2, v3
	ds_bpermute_b32 v3, v3, v1
	s_and_saveexec_b64 s[6:7], vcc
	s_cbranch_execz .LBB12_7
; %bb.5:
	s_load_dword s0, s[0:1], 0x30
	s_mul_i32 s4, s13, s4
	s_waitcnt lgkmcnt(0)
	v_add_f32_e32 v1, v1, v3
	s_mov_b32 s1, 0x800000
	v_mul_f32_e64 v3, s0, s0
	s_add_i32 s0, s4, s3
	s_mul_i32 s0, s0, s12
	s_add_i32 s0, s0, s2
	s_add_i32 s2, s34, s30
	;; [unrolled: 1-line block ×3, first 2 shown]
	v_max_f32_e32 v1, v1, v3
	s_mul_i32 s0, s0, s5
	s_add_i32 s19, s2, s35
	s_add_i32 s17, s4, s33
	v_cmp_gt_f32_e32 vcc, s1, v1
	s_ashr_i32 s1, s0, 31
	s_lshl_b64 s[2:3], s[18:19], 2
	s_lshl_b64 s[6:7], s[16:17], 2
	s_add_u32 s4, s2, s6
	s_addc_u32 s6, s3, s7
	s_add_i32 s2, s27, s26
	v_mul_f32_e32 v3, 0x4b800000, v1
	s_add_i32 s15, s2, s28
	v_cndmask_b32_e32 v1, v1, v3, vcc
	s_lshl_b64 s[2:3], s[14:15], 2
	v_rsq_f32_e32 v1, v1
	s_add_u32 s2, s4, s2
	s_addc_u32 s3, s6, s3
	s_add_u32 s2, s8, s2
	s_addc_u32 s3, s9, s3
	s_lshl_b64 s[0:1], s[0:1], 2
	v_mul_f32_e32 v3, 0x45800000, v1
	s_add_u32 s0, s10, s0
	v_cndmask_b32_e32 v1, v1, v3, vcc
	v_mov_b32_e32 v3, 0
	s_addc_u32 s1, s11, s1
	v_lshl_add_u64 v[4:5], s[2:3], 0, v[2:3]
	v_lshl_add_u64 v[2:3], s[0:1], 0, v[2:3]
	s_mov_b64 s[0:1], 0
	s_mov_b64 s[2:3], 0x80
.LBB12_6:                               ; =>This Inner Loop Header: Depth=1
	global_load_dword v6, v[4:5], off
	v_add_u32_e32 v0, 32, v0
	v_cmp_le_i32_e32 vcc, s5, v0
	v_lshl_add_u64 v[4:5], v[4:5], 0, s[2:3]
	s_or_b64 s[0:1], vcc, s[0:1]
	s_waitcnt vmcnt(0)
	v_mul_f32_e32 v6, v1, v6
	global_store_dword v[2:3], v6, off
	v_lshl_add_u64 v[2:3], v[2:3], 0, s[2:3]
	s_andn2_b64 exec, exec, s[0:1]
	s_cbranch_execnz .LBB12_6
.LBB12_7:
	s_endpgm
	.section	.rodata,"a",@progbits
	.p2align	6, 0x0
	.amdhsa_kernel _ZL11l2_norm_f32ILi32EEvPKfPfilllf
		.amdhsa_group_segment_fixed_size 0
		.amdhsa_private_segment_fixed_size 0
		.amdhsa_kernarg_size 312
		.amdhsa_user_sgpr_count 2
		.amdhsa_user_sgpr_dispatch_ptr 0
		.amdhsa_user_sgpr_queue_ptr 0
		.amdhsa_user_sgpr_kernarg_segment_ptr 1
		.amdhsa_user_sgpr_dispatch_id 0
		.amdhsa_user_sgpr_kernarg_preload_length 0
		.amdhsa_user_sgpr_kernarg_preload_offset 0
		.amdhsa_user_sgpr_private_segment_size 0
		.amdhsa_uses_dynamic_stack 0
		.amdhsa_enable_private_segment 0
		.amdhsa_system_sgpr_workgroup_id_x 1
		.amdhsa_system_sgpr_workgroup_id_y 1
		.amdhsa_system_sgpr_workgroup_id_z 1
		.amdhsa_system_sgpr_workgroup_info 0
		.amdhsa_system_vgpr_workitem_id 0
		.amdhsa_next_free_vgpr 7
		.amdhsa_next_free_sgpr 36
		.amdhsa_accum_offset 8
		.amdhsa_reserve_vcc 1
		.amdhsa_float_round_mode_32 0
		.amdhsa_float_round_mode_16_64 0
		.amdhsa_float_denorm_mode_32 3
		.amdhsa_float_denorm_mode_16_64 3
		.amdhsa_dx10_clamp 1
		.amdhsa_ieee_mode 1
		.amdhsa_fp16_overflow 0
		.amdhsa_tg_split 0
		.amdhsa_exception_fp_ieee_invalid_op 0
		.amdhsa_exception_fp_denorm_src 0
		.amdhsa_exception_fp_ieee_div_zero 0
		.amdhsa_exception_fp_ieee_overflow 0
		.amdhsa_exception_fp_ieee_underflow 0
		.amdhsa_exception_fp_ieee_inexact 0
		.amdhsa_exception_int_div_zero 0
	.end_amdhsa_kernel
	.section	.text._ZL11l2_norm_f32ILi32EEvPKfPfilllf,"axG",@progbits,_ZL11l2_norm_f32ILi32EEvPKfPfilllf,comdat
.Lfunc_end12:
	.size	_ZL11l2_norm_f32ILi32EEvPKfPfilllf, .Lfunc_end12-_ZL11l2_norm_f32ILi32EEvPKfPfilllf
                                        ; -- End function
	.set _ZL11l2_norm_f32ILi32EEvPKfPfilllf.num_vgpr, 7
	.set _ZL11l2_norm_f32ILi32EEvPKfPfilllf.num_agpr, 0
	.set _ZL11l2_norm_f32ILi32EEvPKfPfilllf.numbered_sgpr, 36
	.set _ZL11l2_norm_f32ILi32EEvPKfPfilllf.num_named_barrier, 0
	.set _ZL11l2_norm_f32ILi32EEvPKfPfilllf.private_seg_size, 0
	.set _ZL11l2_norm_f32ILi32EEvPKfPfilllf.uses_vcc, 1
	.set _ZL11l2_norm_f32ILi32EEvPKfPfilllf.uses_flat_scratch, 0
	.set _ZL11l2_norm_f32ILi32EEvPKfPfilllf.has_dyn_sized_stack, 0
	.set _ZL11l2_norm_f32ILi32EEvPKfPfilllf.has_recursion, 0
	.set _ZL11l2_norm_f32ILi32EEvPKfPfilllf.has_indirect_call, 0
	.section	.AMDGPU.csdata,"",@progbits
; Kernel info:
; codeLenInByte = 760
; TotalNumSgprs: 42
; NumVgprs: 7
; NumAgprs: 0
; TotalNumVgprs: 7
; ScratchSize: 0
; MemoryBound: 0
; FloatMode: 240
; IeeeMode: 1
; LDSByteSize: 0 bytes/workgroup (compile time only)
; SGPRBlocks: 5
; VGPRBlocks: 0
; NumSGPRsForWavesPerEU: 42
; NumVGPRsForWavesPerEU: 7
; AccumOffset: 8
; Occupancy: 8
; WaveLimiterHint : 0
; COMPUTE_PGM_RSRC2:SCRATCH_EN: 0
; COMPUTE_PGM_RSRC2:USER_SGPR: 2
; COMPUTE_PGM_RSRC2:TRAP_HANDLER: 0
; COMPUTE_PGM_RSRC2:TGID_X_EN: 1
; COMPUTE_PGM_RSRC2:TGID_Y_EN: 1
; COMPUTE_PGM_RSRC2:TGID_Z_EN: 1
; COMPUTE_PGM_RSRC2:TIDIG_COMP_CNT: 0
; COMPUTE_PGM_RSRC3_GFX90A:ACCUM_OFFSET: 1
; COMPUTE_PGM_RSRC3_GFX90A:TG_SPLIT: 0
	.section	.text._ZL11l2_norm_f32ILi1024EEvPKfPfilllf,"axG",@progbits,_ZL11l2_norm_f32ILi1024EEvPKfPfilllf,comdat
	.globl	_ZL11l2_norm_f32ILi1024EEvPKfPfilllf ; -- Begin function _ZL11l2_norm_f32ILi1024EEvPKfPfilllf
	.p2align	8
	.type	_ZL11l2_norm_f32ILi1024EEvPKfPfilllf,@function
_ZL11l2_norm_f32ILi1024EEvPKfPfilllf:   ; @_ZL11l2_norm_f32ILi1024EEvPKfPfilllf
; %bb.0:
	s_load_dwordx4 s[8:11], s[0:1], 0x0
	s_load_dword s5, s[0:1], 0x10
	s_load_dwordx4 s[20:23], s[0:1], 0x18
	s_load_dwordx2 s[6:7], s[0:1], 0x28
	s_load_dwordx2 s[12:13], s[0:1], 0x38
	s_ashr_i32 s14, s4, 31
	s_ashr_i32 s15, s3, 31
	;; [unrolled: 1-line block ×3, first 2 shown]
	s_waitcnt lgkmcnt(0)
	v_cmp_gt_i32_e32 vcc, s5, v0
	v_mov_b32_e32 v3, 0
	s_mul_i32 s30, s6, s14
	s_mul_hi_u32 s34, s6, s4
	s_mul_i32 s35, s7, s4
	s_mul_i32 s18, s6, s4
	s_mul_i32 s29, s22, s15
	s_mul_hi_u32 s31, s22, s3
	s_mul_i32 s33, s23, s3
	s_mul_i32 s16, s22, s3
	s_mul_i32 s26, s20, s17
	s_mul_hi_u32 s27, s20, s2
	s_mul_i32 s28, s21, s2
	s_mul_i32 s14, s20, s2
	v_lshlrev_b32_e32 v2, 2, v0
	s_and_saveexec_b64 s[20:21], vcc
	s_cbranch_execz .LBB13_4
; %bb.1:
	s_add_i32 s6, s34, s30
	s_add_i32 s15, s31, s29
	;; [unrolled: 1-line block ×4, first 2 shown]
	s_lshl_b64 s[6:7], s[18:19], 2
	s_lshl_b64 s[22:23], s[16:17], 2
	s_add_u32 s17, s6, s22
	s_addc_u32 s19, s7, s23
	s_add_i32 s6, s27, s26
	s_add_i32 s15, s6, s28
	s_lshl_b64 s[6:7], s[14:15], 2
	s_add_u32 s6, s17, s6
	s_addc_u32 s7, s19, s7
	s_add_u32 s6, s8, s6
	v_mov_b32_e32 v3, 0
	s_addc_u32 s7, s9, s7
	v_lshl_add_u64 v[4:5], s[6:7], 0, v[2:3]
	s_mov_b64 s[22:23], 0
	s_mov_b64 s[24:25], 0x1000
	v_mov_b32_e32 v1, v0
.LBB13_2:                               ; =>This Inner Loop Header: Depth=1
	global_load_dword v6, v[4:5], off
	v_add_u32_e32 v1, 0x400, v1
	v_cmp_le_i32_e64 s[6:7], s5, v1
	v_lshl_add_u64 v[4:5], v[4:5], 0, s[24:25]
	s_or_b64 s[22:23], s[6:7], s[22:23]
	s_waitcnt vmcnt(0)
	v_fmac_f32_e32 v3, v6, v6
	s_andn2_b64 exec, exec, s[22:23]
	s_cbranch_execnz .LBB13_2
; %bb.3:
	s_or_b64 exec, exec, s[22:23]
.LBB13_4:
	s_or_b64 exec, exec, s[20:21]
	v_mbcnt_lo_u32_b32 v1, -1, 0
	v_mbcnt_hi_u32_b32 v6, -1, v1
	v_and_b32_e32 v1, 0x60, v6
	v_add_u32_e32 v7, 32, v1
	v_xor_b32_e32 v1, 16, v6
	v_cmp_lt_i32_e64 s[6:7], v1, v7
	v_xor_b32_e32 v5, 8, v6
	v_xor_b32_e32 v8, 4, v6
	v_cndmask_b32_e64 v1, v6, v1, s[6:7]
	v_lshlrev_b32_e32 v1, 2, v1
	ds_bpermute_b32 v4, v1, v3
	v_cmp_lt_i32_e64 s[6:7], v5, v7
	v_xor_b32_e32 v9, 2, v6
	v_xor_b32_e32 v10, 1, v6
	s_waitcnt lgkmcnt(0)
	v_add_f32_e32 v4, v3, v4
	v_cndmask_b32_e64 v3, v6, v5, s[6:7]
	v_lshlrev_b32_e32 v3, 2, v3
	ds_bpermute_b32 v5, v3, v4
	v_cmp_lt_i32_e64 s[6:7], v8, v7
	s_waitcnt lgkmcnt(0)
	v_add_f32_e32 v5, v4, v5
	v_cndmask_b32_e64 v4, v6, v8, s[6:7]
	v_lshlrev_b32_e32 v4, 2, v4
	ds_bpermute_b32 v8, v4, v5
	v_cmp_lt_i32_e64 s[6:7], v9, v7
	;; [unrolled: 6-line block ×3, first 2 shown]
	v_and_b32_e32 v7, 31, v0
	s_waitcnt lgkmcnt(0)
	v_add_f32_e32 v8, v8, v9
	v_cndmask_b32_e64 v6, v6, v10, s[6:7]
	v_lshlrev_b32_e32 v6, 2, v6
	ds_bpermute_b32 v9, v6, v8
	v_cmp_eq_u32_e64 s[6:7], 0, v7
	s_and_saveexec_b64 s[20:21], s[6:7]
	s_cbranch_execz .LBB13_6
; %bb.5:
	s_waitcnt lgkmcnt(0)
	v_add_f32_e32 v8, v8, v9
	v_lshrrev_b32_e32 v9, 3, v0
	v_add_u32_e32 v9, 0, v9
	ds_write_b32 v9, v8
.LBB13_6:
	s_or_b64 exec, exec, s[20:21]
	v_lshl_add_u32 v7, v7, 2, 0
	s_waitcnt lgkmcnt(0)
	s_barrier
	ds_read_b32 v7, v7
	s_waitcnt lgkmcnt(0)
	ds_bpermute_b32 v1, v1, v7
	s_waitcnt lgkmcnt(0)
	v_add_f32_e32 v1, v7, v1
	ds_bpermute_b32 v3, v3, v1
	s_waitcnt lgkmcnt(0)
	v_add_f32_e32 v1, v1, v3
	;; [unrolled: 3-line block ×4, first 2 shown]
	ds_bpermute_b32 v3, v6, v1
	s_and_saveexec_b64 s[6:7], vcc
	s_cbranch_execz .LBB13_9
; %bb.7:
	s_load_dword s0, s[0:1], 0x30
	s_mul_i32 s4, s13, s4
	s_waitcnt lgkmcnt(0)
	v_add_f32_e32 v1, v1, v3
	s_mov_b32 s1, 0x800000
	v_mul_f32_e64 v3, s0, s0
	s_add_i32 s0, s4, s3
	s_mul_i32 s0, s0, s12
	s_add_i32 s0, s0, s2
	s_add_i32 s2, s34, s30
	;; [unrolled: 1-line block ×3, first 2 shown]
	v_max_f32_e32 v1, v1, v3
	s_mul_i32 s0, s0, s5
	s_add_i32 s19, s2, s35
	s_add_i32 s17, s4, s33
	v_cmp_gt_f32_e32 vcc, s1, v1
	s_ashr_i32 s1, s0, 31
	s_lshl_b64 s[2:3], s[18:19], 2
	s_lshl_b64 s[6:7], s[16:17], 2
	s_add_u32 s4, s2, s6
	s_addc_u32 s6, s3, s7
	s_add_i32 s2, s27, s26
	v_mul_f32_e32 v3, 0x4b800000, v1
	s_add_i32 s15, s2, s28
	v_cndmask_b32_e32 v1, v1, v3, vcc
	s_lshl_b64 s[2:3], s[14:15], 2
	v_rsq_f32_e32 v1, v1
	s_add_u32 s2, s4, s2
	s_addc_u32 s3, s6, s3
	s_add_u32 s2, s8, s2
	s_addc_u32 s3, s9, s3
	s_lshl_b64 s[0:1], s[0:1], 2
	v_mul_f32_e32 v3, 0x45800000, v1
	s_add_u32 s0, s10, s0
	v_cndmask_b32_e32 v1, v1, v3, vcc
	v_mov_b32_e32 v3, 0
	s_addc_u32 s1, s11, s1
	v_lshl_add_u64 v[4:5], s[2:3], 0, v[2:3]
	v_lshl_add_u64 v[2:3], s[0:1], 0, v[2:3]
	s_mov_b64 s[0:1], 0
	s_mov_b64 s[2:3], 0x1000
.LBB13_8:                               ; =>This Inner Loop Header: Depth=1
	global_load_dword v6, v[4:5], off
	v_add_u32_e32 v0, 0x400, v0
	v_cmp_le_i32_e32 vcc, s5, v0
	v_lshl_add_u64 v[4:5], v[4:5], 0, s[2:3]
	s_or_b64 s[0:1], vcc, s[0:1]
	s_waitcnt vmcnt(0)
	v_mul_f32_e32 v6, v1, v6
	global_store_dword v[2:3], v6, off
	v_lshl_add_u64 v[2:3], v[2:3], 0, s[2:3]
	s_andn2_b64 exec, exec, s[0:1]
	s_cbranch_execnz .LBB13_8
.LBB13_9:
	s_endpgm
	.section	.rodata,"a",@progbits
	.p2align	6, 0x0
	.amdhsa_kernel _ZL11l2_norm_f32ILi1024EEvPKfPfilllf
		.amdhsa_group_segment_fixed_size 0
		.amdhsa_private_segment_fixed_size 0
		.amdhsa_kernarg_size 312
		.amdhsa_user_sgpr_count 2
		.amdhsa_user_sgpr_dispatch_ptr 0
		.amdhsa_user_sgpr_queue_ptr 0
		.amdhsa_user_sgpr_kernarg_segment_ptr 1
		.amdhsa_user_sgpr_dispatch_id 0
		.amdhsa_user_sgpr_kernarg_preload_length 0
		.amdhsa_user_sgpr_kernarg_preload_offset 0
		.amdhsa_user_sgpr_private_segment_size 0
		.amdhsa_uses_dynamic_stack 0
		.amdhsa_enable_private_segment 0
		.amdhsa_system_sgpr_workgroup_id_x 1
		.amdhsa_system_sgpr_workgroup_id_y 1
		.amdhsa_system_sgpr_workgroup_id_z 1
		.amdhsa_system_sgpr_workgroup_info 0
		.amdhsa_system_vgpr_workitem_id 0
		.amdhsa_next_free_vgpr 11
		.amdhsa_next_free_sgpr 36
		.amdhsa_accum_offset 12
		.amdhsa_reserve_vcc 1
		.amdhsa_float_round_mode_32 0
		.amdhsa_float_round_mode_16_64 0
		.amdhsa_float_denorm_mode_32 3
		.amdhsa_float_denorm_mode_16_64 3
		.amdhsa_dx10_clamp 1
		.amdhsa_ieee_mode 1
		.amdhsa_fp16_overflow 0
		.amdhsa_tg_split 0
		.amdhsa_exception_fp_ieee_invalid_op 0
		.amdhsa_exception_fp_denorm_src 0
		.amdhsa_exception_fp_ieee_div_zero 0
		.amdhsa_exception_fp_ieee_overflow 0
		.amdhsa_exception_fp_ieee_underflow 0
		.amdhsa_exception_fp_ieee_inexact 0
		.amdhsa_exception_int_div_zero 0
	.end_amdhsa_kernel
	.section	.text._ZL11l2_norm_f32ILi1024EEvPKfPfilllf,"axG",@progbits,_ZL11l2_norm_f32ILi1024EEvPKfPfilllf,comdat
.Lfunc_end13:
	.size	_ZL11l2_norm_f32ILi1024EEvPKfPfilllf, .Lfunc_end13-_ZL11l2_norm_f32ILi1024EEvPKfPfilllf
                                        ; -- End function
	.set _ZL11l2_norm_f32ILi1024EEvPKfPfilllf.num_vgpr, 11
	.set _ZL11l2_norm_f32ILi1024EEvPKfPfilllf.num_agpr, 0
	.set _ZL11l2_norm_f32ILi1024EEvPKfPfilllf.numbered_sgpr, 36
	.set _ZL11l2_norm_f32ILi1024EEvPKfPfilllf.num_named_barrier, 0
	.set _ZL11l2_norm_f32ILi1024EEvPKfPfilllf.private_seg_size, 0
	.set _ZL11l2_norm_f32ILi1024EEvPKfPfilllf.uses_vcc, 1
	.set _ZL11l2_norm_f32ILi1024EEvPKfPfilllf.uses_flat_scratch, 0
	.set _ZL11l2_norm_f32ILi1024EEvPKfPfilllf.has_dyn_sized_stack, 0
	.set _ZL11l2_norm_f32ILi1024EEvPKfPfilllf.has_recursion, 0
	.set _ZL11l2_norm_f32ILi1024EEvPKfPfilllf.has_indirect_call, 0
	.section	.AMDGPU.csdata,"",@progbits
; Kernel info:
; codeLenInByte = 912
; TotalNumSgprs: 42
; NumVgprs: 11
; NumAgprs: 0
; TotalNumVgprs: 11
; ScratchSize: 0
; MemoryBound: 0
; FloatMode: 240
; IeeeMode: 1
; LDSByteSize: 0 bytes/workgroup (compile time only)
; SGPRBlocks: 5
; VGPRBlocks: 1
; NumSGPRsForWavesPerEU: 42
; NumVGPRsForWavesPerEU: 11
; AccumOffset: 12
; Occupancy: 8
; WaveLimiterHint : 0
; COMPUTE_PGM_RSRC2:SCRATCH_EN: 0
; COMPUTE_PGM_RSRC2:USER_SGPR: 2
; COMPUTE_PGM_RSRC2:TRAP_HANDLER: 0
; COMPUTE_PGM_RSRC2:TGID_X_EN: 1
; COMPUTE_PGM_RSRC2:TGID_Y_EN: 1
; COMPUTE_PGM_RSRC2:TGID_Z_EN: 1
; COMPUTE_PGM_RSRC2:TIDIG_COMP_CNT: 0
; COMPUTE_PGM_RSRC3_GFX90A:ACCUM_OFFSET: 2
; COMPUTE_PGM_RSRC3_GFX90A:TG_SPLIT: 0
	.section	.AMDGPU.gpr_maximums,"",@progbits
	.set amdgpu.max_num_vgpr, 0
	.set amdgpu.max_num_agpr, 0
	.set amdgpu.max_num_sgpr, 0
	.section	.AMDGPU.csdata,"",@progbits
	.type	__hip_cuid_ac084b7518627e07,@object ; @__hip_cuid_ac084b7518627e07
	.section	.bss,"aw",@nobits
	.globl	__hip_cuid_ac084b7518627e07
__hip_cuid_ac084b7518627e07:
	.byte	0                               ; 0x0
	.size	__hip_cuid_ac084b7518627e07, 1

	.ident	"AMD clang version 22.0.0git (https://github.com/RadeonOpenCompute/llvm-project roc-7.2.4 26084 f58b06dce1f9c15707c5f808fd002e18c2accf7e)"
	.section	".note.GNU-stack","",@progbits
	.addrsig
	.addrsig_sym __hip_cuid_ac084b7518627e07
	.amdgpu_metadata
---
amdhsa.kernels:
  - .agpr_count:     0
    .args:
      - .address_space:  global
        .offset:         0
        .size:           8
        .value_kind:     global_buffer
      - .address_space:  global
        .offset:         8
        .size:           8
        .value_kind:     global_buffer
      - .offset:         16
        .size:           4
        .value_kind:     by_value
      - .offset:         24
        .size:           8
        .value_kind:     by_value
      - .offset:         32
        .size:           8
        .value_kind:     by_value
      - .offset:         40
        .size:           8
        .value_kind:     by_value
      - .offset:         48
        .size:           4
        .value_kind:     by_value
      - .offset:         56
        .size:           4
        .value_kind:     hidden_block_count_x
      - .offset:         60
        .size:           4
        .value_kind:     hidden_block_count_y
      - .offset:         64
        .size:           4
        .value_kind:     hidden_block_count_z
      - .offset:         68
        .size:           2
        .value_kind:     hidden_group_size_x
      - .offset:         70
        .size:           2
        .value_kind:     hidden_group_size_y
      - .offset:         72
        .size:           2
        .value_kind:     hidden_group_size_z
      - .offset:         74
        .size:           2
        .value_kind:     hidden_remainder_x
      - .offset:         76
        .size:           2
        .value_kind:     hidden_remainder_y
      - .offset:         78
        .size:           2
        .value_kind:     hidden_remainder_z
      - .offset:         96
        .size:           8
        .value_kind:     hidden_global_offset_x
      - .offset:         104
        .size:           8
        .value_kind:     hidden_global_offset_y
      - .offset:         112
        .size:           8
        .value_kind:     hidden_global_offset_z
      - .offset:         120
        .size:           2
        .value_kind:     hidden_grid_dims
    .group_segment_fixed_size: 0
    .kernarg_segment_align: 8
    .kernarg_segment_size: 312
    .language:       OpenCL C
    .language_version:
      - 2
      - 0
    .max_flat_workgroup_size: 1024
    .name:           _ZL8norm_f32ILi32EEvPKfPfilllf
    .private_segment_fixed_size: 0
    .sgpr_count:     42
    .sgpr_spill_count: 0
    .symbol:         _ZL8norm_f32ILi32EEvPKfPfilllf.kd
    .uniform_work_group_size: 1
    .uses_dynamic_stack: false
    .vgpr_count:     10
    .vgpr_spill_count: 0
    .wavefront_size: 64
  - .agpr_count:     0
    .args:
      - .address_space:  global
        .offset:         0
        .size:           8
        .value_kind:     global_buffer
      - .address_space:  global
        .offset:         8
        .size:           8
        .value_kind:     global_buffer
      - .offset:         16
        .size:           4
        .value_kind:     by_value
      - .offset:         24
        .size:           8
        .value_kind:     by_value
      - .offset:         32
        .size:           8
        .value_kind:     by_value
      - .offset:         40
        .size:           8
        .value_kind:     by_value
      - .offset:         48
        .size:           4
        .value_kind:     by_value
      - .offset:         56
        .size:           4
        .value_kind:     hidden_block_count_x
      - .offset:         60
        .size:           4
        .value_kind:     hidden_block_count_y
      - .offset:         64
        .size:           4
        .value_kind:     hidden_block_count_z
      - .offset:         68
        .size:           2
        .value_kind:     hidden_group_size_x
      - .offset:         70
        .size:           2
        .value_kind:     hidden_group_size_y
      - .offset:         72
        .size:           2
        .value_kind:     hidden_group_size_z
      - .offset:         74
        .size:           2
        .value_kind:     hidden_remainder_x
      - .offset:         76
        .size:           2
        .value_kind:     hidden_remainder_y
      - .offset:         78
        .size:           2
        .value_kind:     hidden_remainder_z
      - .offset:         96
        .size:           8
        .value_kind:     hidden_global_offset_x
      - .offset:         104
        .size:           8
        .value_kind:     hidden_global_offset_y
      - .offset:         112
        .size:           8
        .value_kind:     hidden_global_offset_z
      - .offset:         120
        .size:           2
        .value_kind:     hidden_grid_dims
      - .offset:         176
        .size:           4
        .value_kind:     hidden_dynamic_lds_size
    .group_segment_fixed_size: 0
    .kernarg_segment_align: 8
    .kernarg_segment_size: 312
    .language:       OpenCL C
    .language_version:
      - 2
      - 0
    .max_flat_workgroup_size: 1024
    .name:           _ZL8norm_f32ILi1024EEvPKfPfilllf
    .private_segment_fixed_size: 0
    .sgpr_count:     42
    .sgpr_spill_count: 0
    .symbol:         _ZL8norm_f32ILi1024EEvPKfPfilllf.kd
    .uniform_work_group_size: 1
    .uses_dynamic_stack: false
    .vgpr_count:     13
    .vgpr_spill_count: 0
    .wavefront_size: 64
  - .agpr_count:     0
    .args:
      - .address_space:  global
        .offset:         0
        .size:           8
        .value_kind:     global_buffer
      - .address_space:  global
        .offset:         8
        .size:           8
        .value_kind:     global_buffer
      - .offset:         16
        .size:           4
        .value_kind:     by_value
      - .offset:         20
        .size:           4
        .value_kind:     by_value
      - .offset:         24
        .size:           4
        .value_kind:     by_value
    .group_segment_fixed_size: 0
    .kernarg_segment_align: 8
    .kernarg_segment_size: 28
    .language:       OpenCL C
    .language_version:
      - 2
      - 0
    .max_flat_workgroup_size: 1024
    .name:           _ZL14group_norm_f32ILi32EEvPKfPfiif
    .private_segment_fixed_size: 0
    .sgpr_count:     22
    .sgpr_spill_count: 0
    .symbol:         _ZL14group_norm_f32ILi32EEvPKfPfiif.kd
    .uniform_work_group_size: 1
    .uses_dynamic_stack: false
    .vgpr_count:     17
    .vgpr_spill_count: 0
    .wavefront_size: 64
  - .agpr_count:     0
    .args:
      - .address_space:  global
        .offset:         0
        .size:           8
        .value_kind:     global_buffer
      - .address_space:  global
        .offset:         8
        .size:           8
        .value_kind:     global_buffer
      - .offset:         16
        .size:           4
        .value_kind:     by_value
      - .offset:         20
        .size:           4
        .value_kind:     by_value
      - .offset:         24
        .size:           4
        .value_kind:     by_value
    .group_segment_fixed_size: 0
    .kernarg_segment_align: 8
    .kernarg_segment_size: 28
    .language:       OpenCL C
    .language_version:
      - 2
      - 0
    .max_flat_workgroup_size: 1024
    .name:           _ZL14group_norm_f32ILi1024EEvPKfPfiif
    .private_segment_fixed_size: 0
    .sgpr_count:     22
    .sgpr_spill_count: 0
    .symbol:         _ZL14group_norm_f32ILi1024EEvPKfPfiif.kd
    .uniform_work_group_size: 1
    .uses_dynamic_stack: false
    .vgpr_count:     19
    .vgpr_spill_count: 0
    .wavefront_size: 64
  - .agpr_count:     0
    .args:
      - .address_space:  global
        .offset:         0
        .size:           8
        .value_kind:     global_buffer
      - .address_space:  global
        .offset:         8
        .size:           8
        .value_kind:     global_buffer
      - .offset:         16
        .size:           4
        .value_kind:     by_value
      - .offset:         24
        .size:           8
        .value_kind:     by_value
      - .offset:         32
        .size:           8
        .value_kind:     by_value
      - .offset:         40
        .size:           8
        .value_kind:     by_value
      - .offset:         48
        .size:           4
        .value_kind:     by_value
      - .address_space:  global
        .offset:         56
        .size:           8
        .value_kind:     global_buffer
      - .offset:         64
        .size:           8
        .value_kind:     by_value
      - .offset:         72
        .size:           8
        .value_kind:     by_value
      - .offset:         80
        .size:           8
        .value_kind:     by_value
      - .offset:         88
        .size:           12
        .value_kind:     by_value
      - .offset:         100
        .size:           12
        .value_kind:     by_value
      - .offset:         112
        .size:           12
        .value_kind:     by_value
      - .offset:         124
        .size:           12
        .value_kind:     by_value
      - .address_space:  global
        .offset:         136
        .size:           8
        .value_kind:     global_buffer
      - .offset:         144
        .size:           8
        .value_kind:     by_value
      - .offset:         152
        .size:           8
        .value_kind:     by_value
      - .offset:         160
        .size:           8
        .value_kind:     by_value
      - .offset:         168
        .size:           12
        .value_kind:     by_value
      - .offset:         180
        .size:           12
        .value_kind:     by_value
      - .offset:         192
        .size:           12
        .value_kind:     by_value
      - .offset:         204
        .size:           12
        .value_kind:     by_value
      - .offset:         216
        .size:           4
        .value_kind:     hidden_block_count_x
      - .offset:         220
        .size:           4
        .value_kind:     hidden_block_count_y
      - .offset:         224
        .size:           4
        .value_kind:     hidden_block_count_z
      - .offset:         228
        .size:           2
        .value_kind:     hidden_group_size_x
      - .offset:         230
        .size:           2
        .value_kind:     hidden_group_size_y
      - .offset:         232
        .size:           2
        .value_kind:     hidden_group_size_z
      - .offset:         234
        .size:           2
        .value_kind:     hidden_remainder_x
      - .offset:         236
        .size:           2
        .value_kind:     hidden_remainder_y
      - .offset:         238
        .size:           2
        .value_kind:     hidden_remainder_z
      - .offset:         256
        .size:           8
        .value_kind:     hidden_global_offset_x
      - .offset:         264
        .size:           8
        .value_kind:     hidden_global_offset_y
      - .offset:         272
        .size:           8
        .value_kind:     hidden_global_offset_z
      - .offset:         280
        .size:           2
        .value_kind:     hidden_grid_dims
      - .offset:         336
        .size:           4
        .value_kind:     hidden_dynamic_lds_size
    .group_segment_fixed_size: 0
    .kernarg_segment_align: 8
    .kernarg_segment_size: 472
    .language:       OpenCL C
    .language_version:
      - 2
      - 0
    .max_flat_workgroup_size: 1024
    .name:           _ZL12rms_norm_f32ILi256ELb0ELb0EEvPKfPfilllfS1_lll15HIP_vector_typeIjLj3EES4_S4_S4_S1_lllS4_S4_S4_S4_
    .private_segment_fixed_size: 0
    .sgpr_count:     42
    .sgpr_spill_count: 0
    .symbol:         _ZL12rms_norm_f32ILi256ELb0ELb0EEvPKfPfilllfS1_lll15HIP_vector_typeIjLj3EES4_S4_S4_S1_lllS4_S4_S4_S4_.kd
    .uniform_work_group_size: 1
    .uses_dynamic_stack: false
    .vgpr_count:     11
    .vgpr_spill_count: 0
    .wavefront_size: 64
  - .agpr_count:     0
    .args:
      - .address_space:  global
        .offset:         0
        .size:           8
        .value_kind:     global_buffer
      - .address_space:  global
        .offset:         8
        .size:           8
        .value_kind:     global_buffer
      - .offset:         16
        .size:           4
        .value_kind:     by_value
      - .offset:         24
        .size:           8
        .value_kind:     by_value
      - .offset:         32
        .size:           8
        .value_kind:     by_value
      - .offset:         40
        .size:           8
        .value_kind:     by_value
      - .offset:         48
        .size:           4
        .value_kind:     by_value
      - .address_space:  global
        .offset:         56
        .size:           8
        .value_kind:     global_buffer
      - .offset:         64
        .size:           8
        .value_kind:     by_value
      - .offset:         72
        .size:           8
        .value_kind:     by_value
      - .offset:         80
        .size:           8
        .value_kind:     by_value
      - .offset:         88
        .size:           12
        .value_kind:     by_value
      - .offset:         100
        .size:           12
        .value_kind:     by_value
      - .offset:         112
        .size:           12
        .value_kind:     by_value
      - .offset:         124
        .size:           12
        .value_kind:     by_value
      - .address_space:  global
        .offset:         136
        .size:           8
        .value_kind:     global_buffer
      - .offset:         144
        .size:           8
        .value_kind:     by_value
      - .offset:         152
        .size:           8
        .value_kind:     by_value
      - .offset:         160
        .size:           8
        .value_kind:     by_value
      - .offset:         168
        .size:           12
        .value_kind:     by_value
      - .offset:         180
        .size:           12
        .value_kind:     by_value
      - .offset:         192
        .size:           12
        .value_kind:     by_value
      - .offset:         204
        .size:           12
        .value_kind:     by_value
      - .offset:         216
        .size:           4
        .value_kind:     hidden_block_count_x
      - .offset:         220
        .size:           4
        .value_kind:     hidden_block_count_y
      - .offset:         224
        .size:           4
        .value_kind:     hidden_block_count_z
      - .offset:         228
        .size:           2
        .value_kind:     hidden_group_size_x
      - .offset:         230
        .size:           2
        .value_kind:     hidden_group_size_y
      - .offset:         232
        .size:           2
        .value_kind:     hidden_group_size_z
      - .offset:         234
        .size:           2
        .value_kind:     hidden_remainder_x
      - .offset:         236
        .size:           2
        .value_kind:     hidden_remainder_y
      - .offset:         238
        .size:           2
        .value_kind:     hidden_remainder_z
      - .offset:         256
        .size:           8
        .value_kind:     hidden_global_offset_x
      - .offset:         264
        .size:           8
        .value_kind:     hidden_global_offset_y
      - .offset:         272
        .size:           8
        .value_kind:     hidden_global_offset_z
      - .offset:         280
        .size:           2
        .value_kind:     hidden_grid_dims
      - .offset:         336
        .size:           4
        .value_kind:     hidden_dynamic_lds_size
    .group_segment_fixed_size: 0
    .kernarg_segment_align: 8
    .kernarg_segment_size: 472
    .language:       OpenCL C
    .language_version:
      - 2
      - 0
    .max_flat_workgroup_size: 1024
    .name:           _ZL12rms_norm_f32ILi1024ELb0ELb0EEvPKfPfilllfS1_lll15HIP_vector_typeIjLj3EES4_S4_S4_S1_lllS4_S4_S4_S4_
    .private_segment_fixed_size: 0
    .sgpr_count:     42
    .sgpr_spill_count: 0
    .symbol:         _ZL12rms_norm_f32ILi1024ELb0ELb0EEvPKfPfilllfS1_lll15HIP_vector_typeIjLj3EES4_S4_S4_S1_lllS4_S4_S4_S4_.kd
    .uniform_work_group_size: 1
    .uses_dynamic_stack: false
    .vgpr_count:     11
    .vgpr_spill_count: 0
    .wavefront_size: 64
  - .agpr_count:     0
    .args:
      - .address_space:  global
        .offset:         0
        .size:           8
        .value_kind:     global_buffer
      - .address_space:  global
        .offset:         8
        .size:           8
        .value_kind:     global_buffer
      - .offset:         16
        .size:           4
        .value_kind:     by_value
      - .offset:         24
        .size:           8
        .value_kind:     by_value
      - .offset:         32
        .size:           8
        .value_kind:     by_value
      - .offset:         40
        .size:           8
        .value_kind:     by_value
      - .offset:         48
        .size:           4
        .value_kind:     by_value
      - .address_space:  global
        .offset:         56
        .size:           8
        .value_kind:     global_buffer
      - .offset:         64
        .size:           8
        .value_kind:     by_value
      - .offset:         72
        .size:           8
        .value_kind:     by_value
      - .offset:         80
        .size:           8
        .value_kind:     by_value
      - .offset:         88
        .size:           12
        .value_kind:     by_value
      - .offset:         100
        .size:           12
        .value_kind:     by_value
      - .offset:         112
        .size:           12
        .value_kind:     by_value
      - .offset:         124
        .size:           12
        .value_kind:     by_value
      - .address_space:  global
        .offset:         136
        .size:           8
        .value_kind:     global_buffer
      - .offset:         144
        .size:           8
        .value_kind:     by_value
      - .offset:         152
        .size:           8
        .value_kind:     by_value
      - .offset:         160
        .size:           8
        .value_kind:     by_value
      - .offset:         168
        .size:           12
        .value_kind:     by_value
      - .offset:         180
        .size:           12
        .value_kind:     by_value
      - .offset:         192
        .size:           12
        .value_kind:     by_value
      - .offset:         204
        .size:           12
        .value_kind:     by_value
      - .offset:         216
        .size:           4
        .value_kind:     hidden_block_count_x
      - .offset:         220
        .size:           4
        .value_kind:     hidden_block_count_y
      - .offset:         224
        .size:           4
        .value_kind:     hidden_block_count_z
      - .offset:         228
        .size:           2
        .value_kind:     hidden_group_size_x
      - .offset:         230
        .size:           2
        .value_kind:     hidden_group_size_y
      - .offset:         232
        .size:           2
        .value_kind:     hidden_group_size_z
      - .offset:         234
        .size:           2
        .value_kind:     hidden_remainder_x
      - .offset:         236
        .size:           2
        .value_kind:     hidden_remainder_y
      - .offset:         238
        .size:           2
        .value_kind:     hidden_remainder_z
      - .offset:         256
        .size:           8
        .value_kind:     hidden_global_offset_x
      - .offset:         264
        .size:           8
        .value_kind:     hidden_global_offset_y
      - .offset:         272
        .size:           8
        .value_kind:     hidden_global_offset_z
      - .offset:         280
        .size:           2
        .value_kind:     hidden_grid_dims
      - .offset:         336
        .size:           4
        .value_kind:     hidden_dynamic_lds_size
    .group_segment_fixed_size: 0
    .kernarg_segment_align: 8
    .kernarg_segment_size: 472
    .language:       OpenCL C
    .language_version:
      - 2
      - 0
    .max_flat_workgroup_size: 1024
    .name:           _ZL12rms_norm_f32ILi256ELb1ELb0EEvPKfPfilllfS1_lll15HIP_vector_typeIjLj3EES4_S4_S4_S1_lllS4_S4_S4_S4_
    .private_segment_fixed_size: 0
    .sgpr_count:     56
    .sgpr_spill_count: 0
    .symbol:         _ZL12rms_norm_f32ILi256ELb1ELb0EEvPKfPfilllfS1_lll15HIP_vector_typeIjLj3EES4_S4_S4_S1_lllS4_S4_S4_S4_.kd
    .uniform_work_group_size: 1
    .uses_dynamic_stack: false
    .vgpr_count:     11
    .vgpr_spill_count: 0
    .wavefront_size: 64
  - .agpr_count:     0
    .args:
      - .address_space:  global
        .offset:         0
        .size:           8
        .value_kind:     global_buffer
      - .address_space:  global
        .offset:         8
        .size:           8
        .value_kind:     global_buffer
      - .offset:         16
        .size:           4
        .value_kind:     by_value
      - .offset:         24
        .size:           8
        .value_kind:     by_value
      - .offset:         32
        .size:           8
        .value_kind:     by_value
      - .offset:         40
        .size:           8
        .value_kind:     by_value
      - .offset:         48
        .size:           4
        .value_kind:     by_value
      - .address_space:  global
        .offset:         56
        .size:           8
        .value_kind:     global_buffer
      - .offset:         64
        .size:           8
        .value_kind:     by_value
      - .offset:         72
        .size:           8
        .value_kind:     by_value
      - .offset:         80
        .size:           8
        .value_kind:     by_value
      - .offset:         88
        .size:           12
        .value_kind:     by_value
      - .offset:         100
        .size:           12
        .value_kind:     by_value
      - .offset:         112
        .size:           12
        .value_kind:     by_value
      - .offset:         124
        .size:           12
        .value_kind:     by_value
      - .address_space:  global
        .offset:         136
        .size:           8
        .value_kind:     global_buffer
      - .offset:         144
        .size:           8
        .value_kind:     by_value
      - .offset:         152
        .size:           8
        .value_kind:     by_value
      - .offset:         160
        .size:           8
        .value_kind:     by_value
      - .offset:         168
        .size:           12
        .value_kind:     by_value
      - .offset:         180
        .size:           12
        .value_kind:     by_value
      - .offset:         192
        .size:           12
        .value_kind:     by_value
      - .offset:         204
        .size:           12
        .value_kind:     by_value
      - .offset:         216
        .size:           4
        .value_kind:     hidden_block_count_x
      - .offset:         220
        .size:           4
        .value_kind:     hidden_block_count_y
      - .offset:         224
        .size:           4
        .value_kind:     hidden_block_count_z
      - .offset:         228
        .size:           2
        .value_kind:     hidden_group_size_x
      - .offset:         230
        .size:           2
        .value_kind:     hidden_group_size_y
      - .offset:         232
        .size:           2
        .value_kind:     hidden_group_size_z
      - .offset:         234
        .size:           2
        .value_kind:     hidden_remainder_x
      - .offset:         236
        .size:           2
        .value_kind:     hidden_remainder_y
      - .offset:         238
        .size:           2
        .value_kind:     hidden_remainder_z
      - .offset:         256
        .size:           8
        .value_kind:     hidden_global_offset_x
      - .offset:         264
        .size:           8
        .value_kind:     hidden_global_offset_y
      - .offset:         272
        .size:           8
        .value_kind:     hidden_global_offset_z
      - .offset:         280
        .size:           2
        .value_kind:     hidden_grid_dims
      - .offset:         336
        .size:           4
        .value_kind:     hidden_dynamic_lds_size
    .group_segment_fixed_size: 0
    .kernarg_segment_align: 8
    .kernarg_segment_size: 472
    .language:       OpenCL C
    .language_version:
      - 2
      - 0
    .max_flat_workgroup_size: 1024
    .name:           _ZL12rms_norm_f32ILi1024ELb1ELb0EEvPKfPfilllfS1_lll15HIP_vector_typeIjLj3EES4_S4_S4_S1_lllS4_S4_S4_S4_
    .private_segment_fixed_size: 0
    .sgpr_count:     57
    .sgpr_spill_count: 0
    .symbol:         _ZL12rms_norm_f32ILi1024ELb1ELb0EEvPKfPfilllfS1_lll15HIP_vector_typeIjLj3EES4_S4_S4_S1_lllS4_S4_S4_S4_.kd
    .uniform_work_group_size: 1
    .uses_dynamic_stack: false
    .vgpr_count:     11
    .vgpr_spill_count: 0
    .wavefront_size: 64
  - .agpr_count:     0
    .args:
      - .address_space:  global
        .offset:         0
        .size:           8
        .value_kind:     global_buffer
      - .address_space:  global
        .offset:         8
        .size:           8
        .value_kind:     global_buffer
      - .offset:         16
        .size:           4
        .value_kind:     by_value
      - .offset:         24
        .size:           8
        .value_kind:     by_value
      - .offset:         32
        .size:           8
        .value_kind:     by_value
      - .offset:         40
        .size:           8
        .value_kind:     by_value
      - .offset:         48
        .size:           4
        .value_kind:     by_value
      - .address_space:  global
        .offset:         56
        .size:           8
        .value_kind:     global_buffer
      - .offset:         64
        .size:           8
        .value_kind:     by_value
      - .offset:         72
        .size:           8
        .value_kind:     by_value
      - .offset:         80
        .size:           8
        .value_kind:     by_value
      - .offset:         88
        .size:           12
        .value_kind:     by_value
      - .offset:         100
        .size:           12
        .value_kind:     by_value
      - .offset:         112
        .size:           12
        .value_kind:     by_value
      - .offset:         124
        .size:           12
        .value_kind:     by_value
      - .address_space:  global
        .offset:         136
        .size:           8
        .value_kind:     global_buffer
      - .offset:         144
        .size:           8
        .value_kind:     by_value
      - .offset:         152
        .size:           8
        .value_kind:     by_value
      - .offset:         160
        .size:           8
        .value_kind:     by_value
      - .offset:         168
        .size:           12
        .value_kind:     by_value
      - .offset:         180
        .size:           12
        .value_kind:     by_value
      - .offset:         192
        .size:           12
        .value_kind:     by_value
      - .offset:         204
        .size:           12
        .value_kind:     by_value
      - .offset:         216
        .size:           4
        .value_kind:     hidden_block_count_x
      - .offset:         220
        .size:           4
        .value_kind:     hidden_block_count_y
      - .offset:         224
        .size:           4
        .value_kind:     hidden_block_count_z
      - .offset:         228
        .size:           2
        .value_kind:     hidden_group_size_x
      - .offset:         230
        .size:           2
        .value_kind:     hidden_group_size_y
      - .offset:         232
        .size:           2
        .value_kind:     hidden_group_size_z
      - .offset:         234
        .size:           2
        .value_kind:     hidden_remainder_x
      - .offset:         236
        .size:           2
        .value_kind:     hidden_remainder_y
      - .offset:         238
        .size:           2
        .value_kind:     hidden_remainder_z
      - .offset:         256
        .size:           8
        .value_kind:     hidden_global_offset_x
      - .offset:         264
        .size:           8
        .value_kind:     hidden_global_offset_y
      - .offset:         272
        .size:           8
        .value_kind:     hidden_global_offset_z
      - .offset:         280
        .size:           2
        .value_kind:     hidden_grid_dims
      - .offset:         336
        .size:           4
        .value_kind:     hidden_dynamic_lds_size
    .group_segment_fixed_size: 0
    .kernarg_segment_align: 8
    .kernarg_segment_size: 472
    .language:       OpenCL C
    .language_version:
      - 2
      - 0
    .max_flat_workgroup_size: 1024
    .name:           _ZL12rms_norm_f32ILi256ELb1ELb1EEvPKfPfilllfS1_lll15HIP_vector_typeIjLj3EES4_S4_S4_S1_lllS4_S4_S4_S4_
    .private_segment_fixed_size: 0
    .sgpr_count:     76
    .sgpr_spill_count: 0
    .symbol:         _ZL12rms_norm_f32ILi256ELb1ELb1EEvPKfPfilllfS1_lll15HIP_vector_typeIjLj3EES4_S4_S4_S1_lllS4_S4_S4_S4_.kd
    .uniform_work_group_size: 1
    .uses_dynamic_stack: false
    .vgpr_count:     17
    .vgpr_spill_count: 0
    .wavefront_size: 64
  - .agpr_count:     0
    .args:
      - .address_space:  global
        .offset:         0
        .size:           8
        .value_kind:     global_buffer
      - .address_space:  global
        .offset:         8
        .size:           8
        .value_kind:     global_buffer
      - .offset:         16
        .size:           4
        .value_kind:     by_value
      - .offset:         24
        .size:           8
        .value_kind:     by_value
      - .offset:         32
        .size:           8
        .value_kind:     by_value
      - .offset:         40
        .size:           8
        .value_kind:     by_value
      - .offset:         48
        .size:           4
        .value_kind:     by_value
      - .address_space:  global
        .offset:         56
        .size:           8
        .value_kind:     global_buffer
      - .offset:         64
        .size:           8
        .value_kind:     by_value
      - .offset:         72
        .size:           8
        .value_kind:     by_value
      - .offset:         80
        .size:           8
        .value_kind:     by_value
      - .offset:         88
        .size:           12
        .value_kind:     by_value
      - .offset:         100
        .size:           12
        .value_kind:     by_value
      - .offset:         112
        .size:           12
        .value_kind:     by_value
      - .offset:         124
        .size:           12
        .value_kind:     by_value
      - .address_space:  global
        .offset:         136
        .size:           8
        .value_kind:     global_buffer
      - .offset:         144
        .size:           8
        .value_kind:     by_value
      - .offset:         152
        .size:           8
        .value_kind:     by_value
      - .offset:         160
        .size:           8
        .value_kind:     by_value
      - .offset:         168
        .size:           12
        .value_kind:     by_value
      - .offset:         180
        .size:           12
        .value_kind:     by_value
      - .offset:         192
        .size:           12
        .value_kind:     by_value
      - .offset:         204
        .size:           12
        .value_kind:     by_value
      - .offset:         216
        .size:           4
        .value_kind:     hidden_block_count_x
      - .offset:         220
        .size:           4
        .value_kind:     hidden_block_count_y
      - .offset:         224
        .size:           4
        .value_kind:     hidden_block_count_z
      - .offset:         228
        .size:           2
        .value_kind:     hidden_group_size_x
      - .offset:         230
        .size:           2
        .value_kind:     hidden_group_size_y
      - .offset:         232
        .size:           2
        .value_kind:     hidden_group_size_z
      - .offset:         234
        .size:           2
        .value_kind:     hidden_remainder_x
      - .offset:         236
        .size:           2
        .value_kind:     hidden_remainder_y
      - .offset:         238
        .size:           2
        .value_kind:     hidden_remainder_z
      - .offset:         256
        .size:           8
        .value_kind:     hidden_global_offset_x
      - .offset:         264
        .size:           8
        .value_kind:     hidden_global_offset_y
      - .offset:         272
        .size:           8
        .value_kind:     hidden_global_offset_z
      - .offset:         280
        .size:           2
        .value_kind:     hidden_grid_dims
      - .offset:         336
        .size:           4
        .value_kind:     hidden_dynamic_lds_size
    .group_segment_fixed_size: 0
    .kernarg_segment_align: 8
    .kernarg_segment_size: 472
    .language:       OpenCL C
    .language_version:
      - 2
      - 0
    .max_flat_workgroup_size: 1024
    .name:           _ZL12rms_norm_f32ILi1024ELb1ELb1EEvPKfPfilllfS1_lll15HIP_vector_typeIjLj3EES4_S4_S4_S1_lllS4_S4_S4_S4_
    .private_segment_fixed_size: 0
    .sgpr_count:     77
    .sgpr_spill_count: 0
    .symbol:         _ZL12rms_norm_f32ILi1024ELb1ELb1EEvPKfPfilllfS1_lll15HIP_vector_typeIjLj3EES4_S4_S4_S1_lllS4_S4_S4_S4_.kd
    .uniform_work_group_size: 1
    .uses_dynamic_stack: false
    .vgpr_count:     17
    .vgpr_spill_count: 0
    .wavefront_size: 64
  - .agpr_count:     0
    .args:
      - .address_space:  global
        .offset:         0
        .size:           8
        .value_kind:     global_buffer
      - .address_space:  global
        .offset:         8
        .size:           8
        .value_kind:     global_buffer
      - .address_space:  global
        .offset:         16
        .size:           8
        .value_kind:     global_buffer
      - .offset:         24
        .size:           4
        .value_kind:     by_value
      - .offset:         28
        .size:           4
        .value_kind:     by_value
      - .offset:         32
        .size:           4
        .value_kind:     hidden_block_count_x
      - .offset:         36
        .size:           4
        .value_kind:     hidden_block_count_y
      - .offset:         40
        .size:           4
        .value_kind:     hidden_block_count_z
      - .offset:         44
        .size:           2
        .value_kind:     hidden_group_size_x
      - .offset:         46
        .size:           2
        .value_kind:     hidden_group_size_y
      - .offset:         48
        .size:           2
        .value_kind:     hidden_group_size_z
      - .offset:         50
        .size:           2
        .value_kind:     hidden_remainder_x
      - .offset:         52
        .size:           2
        .value_kind:     hidden_remainder_y
      - .offset:         54
        .size:           2
        .value_kind:     hidden_remainder_z
      - .offset:         72
        .size:           8
        .value_kind:     hidden_global_offset_x
      - .offset:         80
        .size:           8
        .value_kind:     hidden_global_offset_y
      - .offset:         88
        .size:           8
        .value_kind:     hidden_global_offset_z
      - .offset:         96
        .size:           2
        .value_kind:     hidden_grid_dims
    .group_segment_fixed_size: 0
    .kernarg_segment_align: 8
    .kernarg_segment_size: 288
    .language:       OpenCL C
    .language_version:
      - 2
      - 0
    .max_flat_workgroup_size: 1024
    .name:           _ZL17rms_norm_back_f32ILi32EEvPKfS1_Pfif
    .private_segment_fixed_size: 0
    .sgpr_count:     22
    .sgpr_spill_count: 0
    .symbol:         _ZL17rms_norm_back_f32ILi32EEvPKfS1_Pfif.kd
    .uniform_work_group_size: 1
    .uses_dynamic_stack: false
    .vgpr_count:     16
    .vgpr_spill_count: 0
    .wavefront_size: 64
  - .agpr_count:     0
    .args:
      - .address_space:  global
        .offset:         0
        .size:           8
        .value_kind:     global_buffer
      - .address_space:  global
        .offset:         8
        .size:           8
        .value_kind:     global_buffer
      - .address_space:  global
        .offset:         16
        .size:           8
        .value_kind:     global_buffer
      - .offset:         24
        .size:           4
        .value_kind:     by_value
      - .offset:         28
        .size:           4
        .value_kind:     by_value
      - .offset:         32
        .size:           4
        .value_kind:     hidden_block_count_x
      - .offset:         36
        .size:           4
        .value_kind:     hidden_block_count_y
      - .offset:         40
        .size:           4
        .value_kind:     hidden_block_count_z
      - .offset:         44
        .size:           2
        .value_kind:     hidden_group_size_x
      - .offset:         46
        .size:           2
        .value_kind:     hidden_group_size_y
      - .offset:         48
        .size:           2
        .value_kind:     hidden_group_size_z
      - .offset:         50
        .size:           2
        .value_kind:     hidden_remainder_x
      - .offset:         52
        .size:           2
        .value_kind:     hidden_remainder_y
      - .offset:         54
        .size:           2
        .value_kind:     hidden_remainder_z
      - .offset:         72
        .size:           8
        .value_kind:     hidden_global_offset_x
      - .offset:         80
        .size:           8
        .value_kind:     hidden_global_offset_y
      - .offset:         88
        .size:           8
        .value_kind:     hidden_global_offset_z
      - .offset:         96
        .size:           2
        .value_kind:     hidden_grid_dims
    .group_segment_fixed_size: 256
    .kernarg_segment_align: 8
    .kernarg_segment_size: 288
    .language:       OpenCL C
    .language_version:
      - 2
      - 0
    .max_flat_workgroup_size: 1024
    .name:           _ZL17rms_norm_back_f32ILi1024EEvPKfS1_Pfif
    .private_segment_fixed_size: 0
    .sgpr_count:     22
    .sgpr_spill_count: 0
    .symbol:         _ZL17rms_norm_back_f32ILi1024EEvPKfS1_Pfif.kd
    .uniform_work_group_size: 1
    .uses_dynamic_stack: false
    .vgpr_count:     16
    .vgpr_spill_count: 0
    .wavefront_size: 64
  - .agpr_count:     0
    .args:
      - .address_space:  global
        .offset:         0
        .size:           8
        .value_kind:     global_buffer
      - .address_space:  global
        .offset:         8
        .size:           8
        .value_kind:     global_buffer
      - .offset:         16
        .size:           4
        .value_kind:     by_value
      - .offset:         24
        .size:           8
        .value_kind:     by_value
      - .offset:         32
        .size:           8
        .value_kind:     by_value
      - .offset:         40
        .size:           8
        .value_kind:     by_value
      - .offset:         48
        .size:           4
        .value_kind:     by_value
      - .offset:         56
        .size:           4
        .value_kind:     hidden_block_count_x
      - .offset:         60
        .size:           4
        .value_kind:     hidden_block_count_y
      - .offset:         64
        .size:           4
        .value_kind:     hidden_block_count_z
      - .offset:         68
        .size:           2
        .value_kind:     hidden_group_size_x
      - .offset:         70
        .size:           2
        .value_kind:     hidden_group_size_y
      - .offset:         72
        .size:           2
        .value_kind:     hidden_group_size_z
      - .offset:         74
        .size:           2
        .value_kind:     hidden_remainder_x
      - .offset:         76
        .size:           2
        .value_kind:     hidden_remainder_y
      - .offset:         78
        .size:           2
        .value_kind:     hidden_remainder_z
      - .offset:         96
        .size:           8
        .value_kind:     hidden_global_offset_x
      - .offset:         104
        .size:           8
        .value_kind:     hidden_global_offset_y
      - .offset:         112
        .size:           8
        .value_kind:     hidden_global_offset_z
      - .offset:         120
        .size:           2
        .value_kind:     hidden_grid_dims
    .group_segment_fixed_size: 0
    .kernarg_segment_align: 8
    .kernarg_segment_size: 312
    .language:       OpenCL C
    .language_version:
      - 2
      - 0
    .max_flat_workgroup_size: 1024
    .name:           _ZL11l2_norm_f32ILi32EEvPKfPfilllf
    .private_segment_fixed_size: 0
    .sgpr_count:     42
    .sgpr_spill_count: 0
    .symbol:         _ZL11l2_norm_f32ILi32EEvPKfPfilllf.kd
    .uniform_work_group_size: 1
    .uses_dynamic_stack: false
    .vgpr_count:     7
    .vgpr_spill_count: 0
    .wavefront_size: 64
  - .agpr_count:     0
    .args:
      - .address_space:  global
        .offset:         0
        .size:           8
        .value_kind:     global_buffer
      - .address_space:  global
        .offset:         8
        .size:           8
        .value_kind:     global_buffer
      - .offset:         16
        .size:           4
        .value_kind:     by_value
      - .offset:         24
        .size:           8
        .value_kind:     by_value
      - .offset:         32
        .size:           8
        .value_kind:     by_value
      - .offset:         40
        .size:           8
        .value_kind:     by_value
      - .offset:         48
        .size:           4
        .value_kind:     by_value
      - .offset:         56
        .size:           4
        .value_kind:     hidden_block_count_x
      - .offset:         60
        .size:           4
        .value_kind:     hidden_block_count_y
      - .offset:         64
        .size:           4
        .value_kind:     hidden_block_count_z
      - .offset:         68
        .size:           2
        .value_kind:     hidden_group_size_x
      - .offset:         70
        .size:           2
        .value_kind:     hidden_group_size_y
      - .offset:         72
        .size:           2
        .value_kind:     hidden_group_size_z
      - .offset:         74
        .size:           2
        .value_kind:     hidden_remainder_x
      - .offset:         76
        .size:           2
        .value_kind:     hidden_remainder_y
      - .offset:         78
        .size:           2
        .value_kind:     hidden_remainder_z
      - .offset:         96
        .size:           8
        .value_kind:     hidden_global_offset_x
      - .offset:         104
        .size:           8
        .value_kind:     hidden_global_offset_y
      - .offset:         112
        .size:           8
        .value_kind:     hidden_global_offset_z
      - .offset:         120
        .size:           2
        .value_kind:     hidden_grid_dims
      - .offset:         176
        .size:           4
        .value_kind:     hidden_dynamic_lds_size
    .group_segment_fixed_size: 0
    .kernarg_segment_align: 8
    .kernarg_segment_size: 312
    .language:       OpenCL C
    .language_version:
      - 2
      - 0
    .max_flat_workgroup_size: 1024
    .name:           _ZL11l2_norm_f32ILi1024EEvPKfPfilllf
    .private_segment_fixed_size: 0
    .sgpr_count:     42
    .sgpr_spill_count: 0
    .symbol:         _ZL11l2_norm_f32ILi1024EEvPKfPfilllf.kd
    .uniform_work_group_size: 1
    .uses_dynamic_stack: false
    .vgpr_count:     11
    .vgpr_spill_count: 0
    .wavefront_size: 64
amdhsa.target:   amdgcn-amd-amdhsa--gfx950
amdhsa.version:
  - 1
  - 2
...

	.end_amdgpu_metadata
